;; amdgpu-corpus repo=ROCm/rocSPARSE kind=compiled arch=gfx906 opt=O3
	.amdgcn_target "amdgcn-amd-amdhsa--gfx906"
	.amdhsa_code_object_version 6
	.section	.text._ZN9rocsparseL10bsr_gatherILj4ELj64ELj2EifEEv20rocsparse_direction_T2_PKS2_PKT3_PS5_S2_,"axG",@progbits,_ZN9rocsparseL10bsr_gatherILj4ELj64ELj2EifEEv20rocsparse_direction_T2_PKS2_PKT3_PS5_S2_,comdat
	.globl	_ZN9rocsparseL10bsr_gatherILj4ELj64ELj2EifEEv20rocsparse_direction_T2_PKS2_PKT3_PS5_S2_ ; -- Begin function _ZN9rocsparseL10bsr_gatherILj4ELj64ELj2EifEEv20rocsparse_direction_T2_PKS2_PKT3_PS5_S2_
	.p2align	8
	.type	_ZN9rocsparseL10bsr_gatherILj4ELj64ELj2EifEEv20rocsparse_direction_T2_PKS2_PKT3_PS5_S2_,@function
_ZN9rocsparseL10bsr_gatherILj4ELj64ELj2EifEEv20rocsparse_direction_T2_PKS2_PKT3_PS5_S2_: ; @_ZN9rocsparseL10bsr_gatherILj4ELj64ELj2EifEEv20rocsparse_direction_T2_PKS2_PKT3_PS5_S2_
; %bb.0:
	s_load_dwordx2 s[8:9], s[4:5], 0x0
	v_lshl_add_u32 v2, s6, 6, v1
	s_waitcnt lgkmcnt(0)
	v_cmp_gt_i32_e32 vcc, s9, v2
	s_and_saveexec_b64 s[0:1], vcc
	s_cbranch_execz .LBB0_15
; %bb.1:
	s_load_dword s16, s[4:5], 0x20
	v_and_b32_e32 v1, 1, v0
	s_waitcnt lgkmcnt(0)
	v_cmp_gt_i32_e32 vcc, s16, v1
	s_and_b64 exec, exec, vcc
	s_cbranch_execz .LBB0_15
; %bb.2:
	s_load_dwordx4 s[0:3], s[4:5], 0x8
	s_load_dwordx2 s[6:7], s[4:5], 0x18
	v_ashrrev_i32_e32 v3, 31, v2
	v_lshlrev_b64 v[3:4], 2, v[2:3]
	v_lshrrev_b32_e32 v0, 1, v0
	s_waitcnt lgkmcnt(0)
	v_mov_b32_e32 v5, s1
	v_add_co_u32_e32 v3, vcc, s0, v3
	v_addc_co_u32_e32 v4, vcc, v5, v4, vcc
	global_load_dword v3, v[3:4], off
	v_mul_lo_u32 v4, s16, v2
	s_cmp_lg_u32 s8, 0
	v_cmp_gt_u32_e64 s[0:1], s16, v0
	s_cselect_b64 s[4:5], -1, 0
	v_add_u32_e32 v2, v4, v1
	v_mul_lo_u32 v6, s16, v2
	s_lshl_b32 s17, s16, 1
	s_mov_b64 s[8:9], 0
	s_waitcnt vmcnt(0)
	v_mul_lo_u32 v5, v3, s16
	v_add_u32_e32 v2, v5, v1
	v_mul_lo_u32 v7, s16, v2
	s_branch .LBB0_4
.LBB0_3:                                ;   in Loop: Header=BB0_4 Depth=1
	s_or_b64 exec, exec, s[10:11]
	v_add_u32_e32 v1, 2, v1
	v_cmp_le_i32_e32 vcc, s16, v1
	v_add_u32_e32 v6, s17, v6
	s_or_b64 s[8:9], vcc, s[8:9]
	v_add_u32_e32 v7, s17, v7
	s_andn2_b64 exec, exec, s[8:9]
	s_cbranch_execz .LBB0_15
.LBB0_4:                                ; =>This Loop Header: Depth=1
                                        ;     Child Loop BB0_7 Depth 2
	s_and_saveexec_b64 s[10:11], s[0:1]
	s_cbranch_execz .LBB0_3
; %bb.5:                                ;   in Loop: Header=BB0_4 Depth=1
	s_mov_b64 s[12:13], 0
	v_mov_b32_e32 v8, v0
	s_branch .LBB0_7
.LBB0_6:                                ;   in Loop: Header=BB0_7 Depth=2
	v_ashrrev_i32_e32 v3, 31, v2
	v_lshlrev_b64 v[2:3], 2, v[2:3]
	v_mov_b32_e32 v10, s7
	v_add_co_u32_e32 v2, vcc, s6, v2
	v_addc_co_u32_e32 v3, vcc, v10, v3, vcc
	v_add_u32_e32 v8, 2, v8
	v_cmp_le_i32_e32 vcc, s16, v8
	s_or_b64 s[12:13], vcc, s[12:13]
	s_waitcnt vmcnt(0)
	global_store_dword v[2:3], v9, off
	s_andn2_b64 exec, exec, s[12:13]
	s_cbranch_execz .LBB0_3
.LBB0_7:                                ;   Parent Loop BB0_4 Depth=1
                                        ; =>  This Inner Loop Header: Depth=2
	s_and_b64 vcc, exec, s[4:5]
	s_cbranch_vccz .LBB0_12
; %bb.8:                                ;   in Loop: Header=BB0_7 Depth=2
	v_add_u32_e32 v2, v7, v8
	s_cbranch_execnz .LBB0_10
.LBB0_9:                                ;   in Loop: Header=BB0_7 Depth=2
	v_add_u32_e32 v2, v8, v5
	v_mad_u64_u32 v[2:3], s[14:15], v2, s16, v[1:2]
.LBB0_10:                               ;   in Loop: Header=BB0_7 Depth=2
	v_ashrrev_i32_e32 v3, 31, v2
	v_lshlrev_b64 v[2:3], 2, v[2:3]
	v_mov_b32_e32 v9, s3
	v_add_co_u32_e32 v2, vcc, s2, v2
	v_addc_co_u32_e32 v3, vcc, v9, v3, vcc
	global_load_dword v9, v[2:3], off
	s_and_b64 vcc, exec, s[4:5]
	s_cbranch_vccz .LBB0_13
; %bb.11:                               ;   in Loop: Header=BB0_7 Depth=2
	v_add_u32_e32 v2, v8, v4
	v_mad_u64_u32 v[2:3], s[14:15], v2, s16, v[1:2]
	s_cbranch_execnz .LBB0_6
	s_branch .LBB0_14
.LBB0_12:                               ;   in Loop: Header=BB0_7 Depth=2
                                        ; implicit-def: $vgpr2
	s_branch .LBB0_9
.LBB0_13:                               ;   in Loop: Header=BB0_7 Depth=2
                                        ; implicit-def: $vgpr2
.LBB0_14:                               ;   in Loop: Header=BB0_7 Depth=2
	v_add_u32_e32 v2, v6, v8
	s_branch .LBB0_6
.LBB0_15:
	s_endpgm
	.section	.rodata,"a",@progbits
	.p2align	6, 0x0
	.amdhsa_kernel _ZN9rocsparseL10bsr_gatherILj4ELj64ELj2EifEEv20rocsparse_direction_T2_PKS2_PKT3_PS5_S2_
		.amdhsa_group_segment_fixed_size 0
		.amdhsa_private_segment_fixed_size 0
		.amdhsa_kernarg_size 36
		.amdhsa_user_sgpr_count 6
		.amdhsa_user_sgpr_private_segment_buffer 1
		.amdhsa_user_sgpr_dispatch_ptr 0
		.amdhsa_user_sgpr_queue_ptr 0
		.amdhsa_user_sgpr_kernarg_segment_ptr 1
		.amdhsa_user_sgpr_dispatch_id 0
		.amdhsa_user_sgpr_flat_scratch_init 0
		.amdhsa_user_sgpr_private_segment_size 0
		.amdhsa_uses_dynamic_stack 0
		.amdhsa_system_sgpr_private_segment_wavefront_offset 0
		.amdhsa_system_sgpr_workgroup_id_x 1
		.amdhsa_system_sgpr_workgroup_id_y 0
		.amdhsa_system_sgpr_workgroup_id_z 0
		.amdhsa_system_sgpr_workgroup_info 0
		.amdhsa_system_vgpr_workitem_id 1
		.amdhsa_next_free_vgpr 11
		.amdhsa_next_free_sgpr 18
		.amdhsa_reserve_vcc 1
		.amdhsa_reserve_flat_scratch 0
		.amdhsa_float_round_mode_32 0
		.amdhsa_float_round_mode_16_64 0
		.amdhsa_float_denorm_mode_32 3
		.amdhsa_float_denorm_mode_16_64 3
		.amdhsa_dx10_clamp 1
		.amdhsa_ieee_mode 1
		.amdhsa_fp16_overflow 0
		.amdhsa_exception_fp_ieee_invalid_op 0
		.amdhsa_exception_fp_denorm_src 0
		.amdhsa_exception_fp_ieee_div_zero 0
		.amdhsa_exception_fp_ieee_overflow 0
		.amdhsa_exception_fp_ieee_underflow 0
		.amdhsa_exception_fp_ieee_inexact 0
		.amdhsa_exception_int_div_zero 0
	.end_amdhsa_kernel
	.section	.text._ZN9rocsparseL10bsr_gatherILj4ELj64ELj2EifEEv20rocsparse_direction_T2_PKS2_PKT3_PS5_S2_,"axG",@progbits,_ZN9rocsparseL10bsr_gatherILj4ELj64ELj2EifEEv20rocsparse_direction_T2_PKS2_PKT3_PS5_S2_,comdat
.Lfunc_end0:
	.size	_ZN9rocsparseL10bsr_gatherILj4ELj64ELj2EifEEv20rocsparse_direction_T2_PKS2_PKT3_PS5_S2_, .Lfunc_end0-_ZN9rocsparseL10bsr_gatherILj4ELj64ELj2EifEEv20rocsparse_direction_T2_PKS2_PKT3_PS5_S2_
                                        ; -- End function
	.set _ZN9rocsparseL10bsr_gatherILj4ELj64ELj2EifEEv20rocsparse_direction_T2_PKS2_PKT3_PS5_S2_.num_vgpr, 11
	.set _ZN9rocsparseL10bsr_gatherILj4ELj64ELj2EifEEv20rocsparse_direction_T2_PKS2_PKT3_PS5_S2_.num_agpr, 0
	.set _ZN9rocsparseL10bsr_gatherILj4ELj64ELj2EifEEv20rocsparse_direction_T2_PKS2_PKT3_PS5_S2_.numbered_sgpr, 18
	.set _ZN9rocsparseL10bsr_gatherILj4ELj64ELj2EifEEv20rocsparse_direction_T2_PKS2_PKT3_PS5_S2_.num_named_barrier, 0
	.set _ZN9rocsparseL10bsr_gatherILj4ELj64ELj2EifEEv20rocsparse_direction_T2_PKS2_PKT3_PS5_S2_.private_seg_size, 0
	.set _ZN9rocsparseL10bsr_gatherILj4ELj64ELj2EifEEv20rocsparse_direction_T2_PKS2_PKT3_PS5_S2_.uses_vcc, 1
	.set _ZN9rocsparseL10bsr_gatherILj4ELj64ELj2EifEEv20rocsparse_direction_T2_PKS2_PKT3_PS5_S2_.uses_flat_scratch, 0
	.set _ZN9rocsparseL10bsr_gatherILj4ELj64ELj2EifEEv20rocsparse_direction_T2_PKS2_PKT3_PS5_S2_.has_dyn_sized_stack, 0
	.set _ZN9rocsparseL10bsr_gatherILj4ELj64ELj2EifEEv20rocsparse_direction_T2_PKS2_PKT3_PS5_S2_.has_recursion, 0
	.set _ZN9rocsparseL10bsr_gatherILj4ELj64ELj2EifEEv20rocsparse_direction_T2_PKS2_PKT3_PS5_S2_.has_indirect_call, 0
	.section	.AMDGPU.csdata,"",@progbits
; Kernel info:
; codeLenInByte = 400
; TotalNumSgprs: 22
; NumVgprs: 11
; ScratchSize: 0
; MemoryBound: 0
; FloatMode: 240
; IeeeMode: 1
; LDSByteSize: 0 bytes/workgroup (compile time only)
; SGPRBlocks: 2
; VGPRBlocks: 2
; NumSGPRsForWavesPerEU: 22
; NumVGPRsForWavesPerEU: 11
; Occupancy: 10
; WaveLimiterHint : 0
; COMPUTE_PGM_RSRC2:SCRATCH_EN: 0
; COMPUTE_PGM_RSRC2:USER_SGPR: 6
; COMPUTE_PGM_RSRC2:TRAP_HANDLER: 0
; COMPUTE_PGM_RSRC2:TGID_X_EN: 1
; COMPUTE_PGM_RSRC2:TGID_Y_EN: 0
; COMPUTE_PGM_RSRC2:TGID_Z_EN: 0
; COMPUTE_PGM_RSRC2:TIDIG_COMP_CNT: 1
	.section	.text._ZN9rocsparseL10bsr_gatherILj16ELj16ELj4EifEEv20rocsparse_direction_T2_PKS2_PKT3_PS5_S2_,"axG",@progbits,_ZN9rocsparseL10bsr_gatherILj16ELj16ELj4EifEEv20rocsparse_direction_T2_PKS2_PKT3_PS5_S2_,comdat
	.globl	_ZN9rocsparseL10bsr_gatherILj16ELj16ELj4EifEEv20rocsparse_direction_T2_PKS2_PKT3_PS5_S2_ ; -- Begin function _ZN9rocsparseL10bsr_gatherILj16ELj16ELj4EifEEv20rocsparse_direction_T2_PKS2_PKT3_PS5_S2_
	.p2align	8
	.type	_ZN9rocsparseL10bsr_gatherILj16ELj16ELj4EifEEv20rocsparse_direction_T2_PKS2_PKT3_PS5_S2_,@function
_ZN9rocsparseL10bsr_gatherILj16ELj16ELj4EifEEv20rocsparse_direction_T2_PKS2_PKT3_PS5_S2_: ; @_ZN9rocsparseL10bsr_gatherILj16ELj16ELj4EifEEv20rocsparse_direction_T2_PKS2_PKT3_PS5_S2_
; %bb.0:
	s_load_dwordx2 s[8:9], s[4:5], 0x0
	v_lshl_add_u32 v2, s6, 4, v1
	s_waitcnt lgkmcnt(0)
	v_cmp_gt_i32_e32 vcc, s9, v2
	s_and_saveexec_b64 s[0:1], vcc
	s_cbranch_execz .LBB1_15
; %bb.1:
	s_load_dword s16, s[4:5], 0x20
	v_and_b32_e32 v1, 3, v0
	s_waitcnt lgkmcnt(0)
	v_cmp_gt_i32_e32 vcc, s16, v1
	s_and_b64 exec, exec, vcc
	s_cbranch_execz .LBB1_15
; %bb.2:
	s_load_dwordx4 s[0:3], s[4:5], 0x8
	s_load_dwordx2 s[6:7], s[4:5], 0x18
	v_ashrrev_i32_e32 v3, 31, v2
	v_lshlrev_b64 v[3:4], 2, v[2:3]
	v_lshrrev_b32_e32 v0, 2, v0
	s_waitcnt lgkmcnt(0)
	v_mov_b32_e32 v5, s1
	v_add_co_u32_e32 v3, vcc, s0, v3
	v_addc_co_u32_e32 v4, vcc, v5, v4, vcc
	global_load_dword v3, v[3:4], off
	v_mul_lo_u32 v4, s16, v2
	s_cmp_lg_u32 s8, 0
	v_cmp_gt_u32_e64 s[0:1], s16, v0
	s_cselect_b64 s[4:5], -1, 0
	v_add_u32_e32 v2, v4, v1
	v_mul_lo_u32 v6, s16, v2
	s_lshl_b32 s17, s16, 2
	s_mov_b64 s[8:9], 0
	s_waitcnt vmcnt(0)
	v_mul_lo_u32 v5, v3, s16
	v_add_u32_e32 v2, v5, v1
	v_mul_lo_u32 v7, s16, v2
	s_branch .LBB1_4
.LBB1_3:                                ;   in Loop: Header=BB1_4 Depth=1
	s_or_b64 exec, exec, s[10:11]
	v_add_u32_e32 v1, 4, v1
	v_cmp_le_i32_e32 vcc, s16, v1
	v_add_u32_e32 v6, s17, v6
	s_or_b64 s[8:9], vcc, s[8:9]
	v_add_u32_e32 v7, s17, v7
	s_andn2_b64 exec, exec, s[8:9]
	s_cbranch_execz .LBB1_15
.LBB1_4:                                ; =>This Loop Header: Depth=1
                                        ;     Child Loop BB1_7 Depth 2
	s_and_saveexec_b64 s[10:11], s[0:1]
	s_cbranch_execz .LBB1_3
; %bb.5:                                ;   in Loop: Header=BB1_4 Depth=1
	s_mov_b64 s[12:13], 0
	v_mov_b32_e32 v8, v0
	s_branch .LBB1_7
.LBB1_6:                                ;   in Loop: Header=BB1_7 Depth=2
	v_ashrrev_i32_e32 v3, 31, v2
	v_lshlrev_b64 v[2:3], 2, v[2:3]
	v_mov_b32_e32 v10, s7
	v_add_co_u32_e32 v2, vcc, s6, v2
	v_addc_co_u32_e32 v3, vcc, v10, v3, vcc
	v_add_u32_e32 v8, 4, v8
	v_cmp_le_i32_e32 vcc, s16, v8
	s_or_b64 s[12:13], vcc, s[12:13]
	s_waitcnt vmcnt(0)
	global_store_dword v[2:3], v9, off
	s_andn2_b64 exec, exec, s[12:13]
	s_cbranch_execz .LBB1_3
.LBB1_7:                                ;   Parent Loop BB1_4 Depth=1
                                        ; =>  This Inner Loop Header: Depth=2
	s_and_b64 vcc, exec, s[4:5]
	s_cbranch_vccz .LBB1_12
; %bb.8:                                ;   in Loop: Header=BB1_7 Depth=2
	v_add_u32_e32 v2, v7, v8
	s_cbranch_execnz .LBB1_10
.LBB1_9:                                ;   in Loop: Header=BB1_7 Depth=2
	v_add_u32_e32 v2, v8, v5
	v_mad_u64_u32 v[2:3], s[14:15], v2, s16, v[1:2]
.LBB1_10:                               ;   in Loop: Header=BB1_7 Depth=2
	v_ashrrev_i32_e32 v3, 31, v2
	v_lshlrev_b64 v[2:3], 2, v[2:3]
	v_mov_b32_e32 v9, s3
	v_add_co_u32_e32 v2, vcc, s2, v2
	v_addc_co_u32_e32 v3, vcc, v9, v3, vcc
	global_load_dword v9, v[2:3], off
	s_and_b64 vcc, exec, s[4:5]
	s_cbranch_vccz .LBB1_13
; %bb.11:                               ;   in Loop: Header=BB1_7 Depth=2
	v_add_u32_e32 v2, v8, v4
	v_mad_u64_u32 v[2:3], s[14:15], v2, s16, v[1:2]
	s_cbranch_execnz .LBB1_6
	s_branch .LBB1_14
.LBB1_12:                               ;   in Loop: Header=BB1_7 Depth=2
                                        ; implicit-def: $vgpr2
	s_branch .LBB1_9
.LBB1_13:                               ;   in Loop: Header=BB1_7 Depth=2
                                        ; implicit-def: $vgpr2
.LBB1_14:                               ;   in Loop: Header=BB1_7 Depth=2
	v_add_u32_e32 v2, v6, v8
	s_branch .LBB1_6
.LBB1_15:
	s_endpgm
	.section	.rodata,"a",@progbits
	.p2align	6, 0x0
	.amdhsa_kernel _ZN9rocsparseL10bsr_gatherILj16ELj16ELj4EifEEv20rocsparse_direction_T2_PKS2_PKT3_PS5_S2_
		.amdhsa_group_segment_fixed_size 0
		.amdhsa_private_segment_fixed_size 0
		.amdhsa_kernarg_size 36
		.amdhsa_user_sgpr_count 6
		.amdhsa_user_sgpr_private_segment_buffer 1
		.amdhsa_user_sgpr_dispatch_ptr 0
		.amdhsa_user_sgpr_queue_ptr 0
		.amdhsa_user_sgpr_kernarg_segment_ptr 1
		.amdhsa_user_sgpr_dispatch_id 0
		.amdhsa_user_sgpr_flat_scratch_init 0
		.amdhsa_user_sgpr_private_segment_size 0
		.amdhsa_uses_dynamic_stack 0
		.amdhsa_system_sgpr_private_segment_wavefront_offset 0
		.amdhsa_system_sgpr_workgroup_id_x 1
		.amdhsa_system_sgpr_workgroup_id_y 0
		.amdhsa_system_sgpr_workgroup_id_z 0
		.amdhsa_system_sgpr_workgroup_info 0
		.amdhsa_system_vgpr_workitem_id 1
		.amdhsa_next_free_vgpr 11
		.amdhsa_next_free_sgpr 18
		.amdhsa_reserve_vcc 1
		.amdhsa_reserve_flat_scratch 0
		.amdhsa_float_round_mode_32 0
		.amdhsa_float_round_mode_16_64 0
		.amdhsa_float_denorm_mode_32 3
		.amdhsa_float_denorm_mode_16_64 3
		.amdhsa_dx10_clamp 1
		.amdhsa_ieee_mode 1
		.amdhsa_fp16_overflow 0
		.amdhsa_exception_fp_ieee_invalid_op 0
		.amdhsa_exception_fp_denorm_src 0
		.amdhsa_exception_fp_ieee_div_zero 0
		.amdhsa_exception_fp_ieee_overflow 0
		.amdhsa_exception_fp_ieee_underflow 0
		.amdhsa_exception_fp_ieee_inexact 0
		.amdhsa_exception_int_div_zero 0
	.end_amdhsa_kernel
	.section	.text._ZN9rocsparseL10bsr_gatherILj16ELj16ELj4EifEEv20rocsparse_direction_T2_PKS2_PKT3_PS5_S2_,"axG",@progbits,_ZN9rocsparseL10bsr_gatherILj16ELj16ELj4EifEEv20rocsparse_direction_T2_PKS2_PKT3_PS5_S2_,comdat
.Lfunc_end1:
	.size	_ZN9rocsparseL10bsr_gatherILj16ELj16ELj4EifEEv20rocsparse_direction_T2_PKS2_PKT3_PS5_S2_, .Lfunc_end1-_ZN9rocsparseL10bsr_gatherILj16ELj16ELj4EifEEv20rocsparse_direction_T2_PKS2_PKT3_PS5_S2_
                                        ; -- End function
	.set _ZN9rocsparseL10bsr_gatherILj16ELj16ELj4EifEEv20rocsparse_direction_T2_PKS2_PKT3_PS5_S2_.num_vgpr, 11
	.set _ZN9rocsparseL10bsr_gatherILj16ELj16ELj4EifEEv20rocsparse_direction_T2_PKS2_PKT3_PS5_S2_.num_agpr, 0
	.set _ZN9rocsparseL10bsr_gatherILj16ELj16ELj4EifEEv20rocsparse_direction_T2_PKS2_PKT3_PS5_S2_.numbered_sgpr, 18
	.set _ZN9rocsparseL10bsr_gatherILj16ELj16ELj4EifEEv20rocsparse_direction_T2_PKS2_PKT3_PS5_S2_.num_named_barrier, 0
	.set _ZN9rocsparseL10bsr_gatherILj16ELj16ELj4EifEEv20rocsparse_direction_T2_PKS2_PKT3_PS5_S2_.private_seg_size, 0
	.set _ZN9rocsparseL10bsr_gatherILj16ELj16ELj4EifEEv20rocsparse_direction_T2_PKS2_PKT3_PS5_S2_.uses_vcc, 1
	.set _ZN9rocsparseL10bsr_gatherILj16ELj16ELj4EifEEv20rocsparse_direction_T2_PKS2_PKT3_PS5_S2_.uses_flat_scratch, 0
	.set _ZN9rocsparseL10bsr_gatherILj16ELj16ELj4EifEEv20rocsparse_direction_T2_PKS2_PKT3_PS5_S2_.has_dyn_sized_stack, 0
	.set _ZN9rocsparseL10bsr_gatherILj16ELj16ELj4EifEEv20rocsparse_direction_T2_PKS2_PKT3_PS5_S2_.has_recursion, 0
	.set _ZN9rocsparseL10bsr_gatherILj16ELj16ELj4EifEEv20rocsparse_direction_T2_PKS2_PKT3_PS5_S2_.has_indirect_call, 0
	.section	.AMDGPU.csdata,"",@progbits
; Kernel info:
; codeLenInByte = 400
; TotalNumSgprs: 22
; NumVgprs: 11
; ScratchSize: 0
; MemoryBound: 0
; FloatMode: 240
; IeeeMode: 1
; LDSByteSize: 0 bytes/workgroup (compile time only)
; SGPRBlocks: 2
; VGPRBlocks: 2
; NumSGPRsForWavesPerEU: 22
; NumVGPRsForWavesPerEU: 11
; Occupancy: 10
; WaveLimiterHint : 0
; COMPUTE_PGM_RSRC2:SCRATCH_EN: 0
; COMPUTE_PGM_RSRC2:USER_SGPR: 6
; COMPUTE_PGM_RSRC2:TRAP_HANDLER: 0
; COMPUTE_PGM_RSRC2:TGID_X_EN: 1
; COMPUTE_PGM_RSRC2:TGID_Y_EN: 0
; COMPUTE_PGM_RSRC2:TGID_Z_EN: 0
; COMPUTE_PGM_RSRC2:TIDIG_COMP_CNT: 1
	.section	.text._ZN9rocsparseL10bsr_gatherILj64ELj4ELj8EifEEv20rocsparse_direction_T2_PKS2_PKT3_PS5_S2_,"axG",@progbits,_ZN9rocsparseL10bsr_gatherILj64ELj4ELj8EifEEv20rocsparse_direction_T2_PKS2_PKT3_PS5_S2_,comdat
	.globl	_ZN9rocsparseL10bsr_gatherILj64ELj4ELj8EifEEv20rocsparse_direction_T2_PKS2_PKT3_PS5_S2_ ; -- Begin function _ZN9rocsparseL10bsr_gatherILj64ELj4ELj8EifEEv20rocsparse_direction_T2_PKS2_PKT3_PS5_S2_
	.p2align	8
	.type	_ZN9rocsparseL10bsr_gatherILj64ELj4ELj8EifEEv20rocsparse_direction_T2_PKS2_PKT3_PS5_S2_,@function
_ZN9rocsparseL10bsr_gatherILj64ELj4ELj8EifEEv20rocsparse_direction_T2_PKS2_PKT3_PS5_S2_: ; @_ZN9rocsparseL10bsr_gatherILj64ELj4ELj8EifEEv20rocsparse_direction_T2_PKS2_PKT3_PS5_S2_
; %bb.0:
	s_load_dwordx2 s[8:9], s[4:5], 0x0
	v_lshl_add_u32 v2, s6, 2, v1
	s_waitcnt lgkmcnt(0)
	v_cmp_gt_i32_e32 vcc, s9, v2
	s_and_saveexec_b64 s[0:1], vcc
	s_cbranch_execz .LBB2_15
; %bb.1:
	s_load_dword s16, s[4:5], 0x20
	v_and_b32_e32 v1, 7, v0
	s_waitcnt lgkmcnt(0)
	v_cmp_gt_i32_e32 vcc, s16, v1
	s_and_b64 exec, exec, vcc
	s_cbranch_execz .LBB2_15
; %bb.2:
	s_load_dwordx4 s[0:3], s[4:5], 0x8
	s_load_dwordx2 s[6:7], s[4:5], 0x18
	v_ashrrev_i32_e32 v3, 31, v2
	v_lshlrev_b64 v[3:4], 2, v[2:3]
	v_lshrrev_b32_e32 v0, 3, v0
	s_waitcnt lgkmcnt(0)
	v_mov_b32_e32 v5, s1
	v_add_co_u32_e32 v3, vcc, s0, v3
	v_addc_co_u32_e32 v4, vcc, v5, v4, vcc
	global_load_dword v3, v[3:4], off
	v_mul_lo_u32 v4, s16, v2
	s_cmp_lg_u32 s8, 0
	v_cmp_gt_u32_e64 s[0:1], s16, v0
	s_cselect_b64 s[4:5], -1, 0
	v_add_u32_e32 v2, v4, v1
	v_mul_lo_u32 v6, s16, v2
	s_lshl_b32 s17, s16, 3
	s_mov_b64 s[8:9], 0
	s_waitcnt vmcnt(0)
	v_mul_lo_u32 v5, v3, s16
	v_add_u32_e32 v2, v5, v1
	v_mul_lo_u32 v7, s16, v2
	s_branch .LBB2_4
.LBB2_3:                                ;   in Loop: Header=BB2_4 Depth=1
	s_or_b64 exec, exec, s[10:11]
	v_add_u32_e32 v1, 8, v1
	v_cmp_le_i32_e32 vcc, s16, v1
	v_add_u32_e32 v6, s17, v6
	s_or_b64 s[8:9], vcc, s[8:9]
	v_add_u32_e32 v7, s17, v7
	s_andn2_b64 exec, exec, s[8:9]
	s_cbranch_execz .LBB2_15
.LBB2_4:                                ; =>This Loop Header: Depth=1
                                        ;     Child Loop BB2_7 Depth 2
	s_and_saveexec_b64 s[10:11], s[0:1]
	s_cbranch_execz .LBB2_3
; %bb.5:                                ;   in Loop: Header=BB2_4 Depth=1
	s_mov_b64 s[12:13], 0
	v_mov_b32_e32 v8, v0
	s_branch .LBB2_7
.LBB2_6:                                ;   in Loop: Header=BB2_7 Depth=2
	v_ashrrev_i32_e32 v3, 31, v2
	v_lshlrev_b64 v[2:3], 2, v[2:3]
	v_mov_b32_e32 v10, s7
	v_add_co_u32_e32 v2, vcc, s6, v2
	v_addc_co_u32_e32 v3, vcc, v10, v3, vcc
	v_add_u32_e32 v8, 8, v8
	v_cmp_le_i32_e32 vcc, s16, v8
	s_or_b64 s[12:13], vcc, s[12:13]
	s_waitcnt vmcnt(0)
	global_store_dword v[2:3], v9, off
	s_andn2_b64 exec, exec, s[12:13]
	s_cbranch_execz .LBB2_3
.LBB2_7:                                ;   Parent Loop BB2_4 Depth=1
                                        ; =>  This Inner Loop Header: Depth=2
	s_and_b64 vcc, exec, s[4:5]
	s_cbranch_vccz .LBB2_12
; %bb.8:                                ;   in Loop: Header=BB2_7 Depth=2
	v_add_u32_e32 v2, v7, v8
	s_cbranch_execnz .LBB2_10
.LBB2_9:                                ;   in Loop: Header=BB2_7 Depth=2
	v_add_u32_e32 v2, v8, v5
	v_mad_u64_u32 v[2:3], s[14:15], v2, s16, v[1:2]
.LBB2_10:                               ;   in Loop: Header=BB2_7 Depth=2
	v_ashrrev_i32_e32 v3, 31, v2
	v_lshlrev_b64 v[2:3], 2, v[2:3]
	v_mov_b32_e32 v9, s3
	v_add_co_u32_e32 v2, vcc, s2, v2
	v_addc_co_u32_e32 v3, vcc, v9, v3, vcc
	global_load_dword v9, v[2:3], off
	s_and_b64 vcc, exec, s[4:5]
	s_cbranch_vccz .LBB2_13
; %bb.11:                               ;   in Loop: Header=BB2_7 Depth=2
	v_add_u32_e32 v2, v8, v4
	v_mad_u64_u32 v[2:3], s[14:15], v2, s16, v[1:2]
	s_cbranch_execnz .LBB2_6
	s_branch .LBB2_14
.LBB2_12:                               ;   in Loop: Header=BB2_7 Depth=2
                                        ; implicit-def: $vgpr2
	s_branch .LBB2_9
.LBB2_13:                               ;   in Loop: Header=BB2_7 Depth=2
                                        ; implicit-def: $vgpr2
.LBB2_14:                               ;   in Loop: Header=BB2_7 Depth=2
	v_add_u32_e32 v2, v6, v8
	s_branch .LBB2_6
.LBB2_15:
	s_endpgm
	.section	.rodata,"a",@progbits
	.p2align	6, 0x0
	.amdhsa_kernel _ZN9rocsparseL10bsr_gatherILj64ELj4ELj8EifEEv20rocsparse_direction_T2_PKS2_PKT3_PS5_S2_
		.amdhsa_group_segment_fixed_size 0
		.amdhsa_private_segment_fixed_size 0
		.amdhsa_kernarg_size 36
		.amdhsa_user_sgpr_count 6
		.amdhsa_user_sgpr_private_segment_buffer 1
		.amdhsa_user_sgpr_dispatch_ptr 0
		.amdhsa_user_sgpr_queue_ptr 0
		.amdhsa_user_sgpr_kernarg_segment_ptr 1
		.amdhsa_user_sgpr_dispatch_id 0
		.amdhsa_user_sgpr_flat_scratch_init 0
		.amdhsa_user_sgpr_private_segment_size 0
		.amdhsa_uses_dynamic_stack 0
		.amdhsa_system_sgpr_private_segment_wavefront_offset 0
		.amdhsa_system_sgpr_workgroup_id_x 1
		.amdhsa_system_sgpr_workgroup_id_y 0
		.amdhsa_system_sgpr_workgroup_id_z 0
		.amdhsa_system_sgpr_workgroup_info 0
		.amdhsa_system_vgpr_workitem_id 1
		.amdhsa_next_free_vgpr 11
		.amdhsa_next_free_sgpr 18
		.amdhsa_reserve_vcc 1
		.amdhsa_reserve_flat_scratch 0
		.amdhsa_float_round_mode_32 0
		.amdhsa_float_round_mode_16_64 0
		.amdhsa_float_denorm_mode_32 3
		.amdhsa_float_denorm_mode_16_64 3
		.amdhsa_dx10_clamp 1
		.amdhsa_ieee_mode 1
		.amdhsa_fp16_overflow 0
		.amdhsa_exception_fp_ieee_invalid_op 0
		.amdhsa_exception_fp_denorm_src 0
		.amdhsa_exception_fp_ieee_div_zero 0
		.amdhsa_exception_fp_ieee_overflow 0
		.amdhsa_exception_fp_ieee_underflow 0
		.amdhsa_exception_fp_ieee_inexact 0
		.amdhsa_exception_int_div_zero 0
	.end_amdhsa_kernel
	.section	.text._ZN9rocsparseL10bsr_gatherILj64ELj4ELj8EifEEv20rocsparse_direction_T2_PKS2_PKT3_PS5_S2_,"axG",@progbits,_ZN9rocsparseL10bsr_gatherILj64ELj4ELj8EifEEv20rocsparse_direction_T2_PKS2_PKT3_PS5_S2_,comdat
.Lfunc_end2:
	.size	_ZN9rocsparseL10bsr_gatherILj64ELj4ELj8EifEEv20rocsparse_direction_T2_PKS2_PKT3_PS5_S2_, .Lfunc_end2-_ZN9rocsparseL10bsr_gatherILj64ELj4ELj8EifEEv20rocsparse_direction_T2_PKS2_PKT3_PS5_S2_
                                        ; -- End function
	.set _ZN9rocsparseL10bsr_gatherILj64ELj4ELj8EifEEv20rocsparse_direction_T2_PKS2_PKT3_PS5_S2_.num_vgpr, 11
	.set _ZN9rocsparseL10bsr_gatherILj64ELj4ELj8EifEEv20rocsparse_direction_T2_PKS2_PKT3_PS5_S2_.num_agpr, 0
	.set _ZN9rocsparseL10bsr_gatherILj64ELj4ELj8EifEEv20rocsparse_direction_T2_PKS2_PKT3_PS5_S2_.numbered_sgpr, 18
	.set _ZN9rocsparseL10bsr_gatherILj64ELj4ELj8EifEEv20rocsparse_direction_T2_PKS2_PKT3_PS5_S2_.num_named_barrier, 0
	.set _ZN9rocsparseL10bsr_gatherILj64ELj4ELj8EifEEv20rocsparse_direction_T2_PKS2_PKT3_PS5_S2_.private_seg_size, 0
	.set _ZN9rocsparseL10bsr_gatherILj64ELj4ELj8EifEEv20rocsparse_direction_T2_PKS2_PKT3_PS5_S2_.uses_vcc, 1
	.set _ZN9rocsparseL10bsr_gatherILj64ELj4ELj8EifEEv20rocsparse_direction_T2_PKS2_PKT3_PS5_S2_.uses_flat_scratch, 0
	.set _ZN9rocsparseL10bsr_gatherILj64ELj4ELj8EifEEv20rocsparse_direction_T2_PKS2_PKT3_PS5_S2_.has_dyn_sized_stack, 0
	.set _ZN9rocsparseL10bsr_gatherILj64ELj4ELj8EifEEv20rocsparse_direction_T2_PKS2_PKT3_PS5_S2_.has_recursion, 0
	.set _ZN9rocsparseL10bsr_gatherILj64ELj4ELj8EifEEv20rocsparse_direction_T2_PKS2_PKT3_PS5_S2_.has_indirect_call, 0
	.section	.AMDGPU.csdata,"",@progbits
; Kernel info:
; codeLenInByte = 400
; TotalNumSgprs: 22
; NumVgprs: 11
; ScratchSize: 0
; MemoryBound: 0
; FloatMode: 240
; IeeeMode: 1
; LDSByteSize: 0 bytes/workgroup (compile time only)
; SGPRBlocks: 2
; VGPRBlocks: 2
; NumSGPRsForWavesPerEU: 22
; NumVGPRsForWavesPerEU: 11
; Occupancy: 10
; WaveLimiterHint : 0
; COMPUTE_PGM_RSRC2:SCRATCH_EN: 0
; COMPUTE_PGM_RSRC2:USER_SGPR: 6
; COMPUTE_PGM_RSRC2:TRAP_HANDLER: 0
; COMPUTE_PGM_RSRC2:TGID_X_EN: 1
; COMPUTE_PGM_RSRC2:TGID_Y_EN: 0
; COMPUTE_PGM_RSRC2:TGID_Z_EN: 0
; COMPUTE_PGM_RSRC2:TIDIG_COMP_CNT: 1
	.section	.text._ZN9rocsparseL18bsrsv_lower_sharedILj128ELj64ELi8ELb1EfEEviNS_24const_host_device_scalarIT3_EEPKiS5_PKS2_iS7_PS2_PiS9_S9_21rocsparse_index_base_20rocsparse_diag_type_20rocsparse_direction_b,"axG",@progbits,_ZN9rocsparseL18bsrsv_lower_sharedILj128ELj64ELi8ELb1EfEEviNS_24const_host_device_scalarIT3_EEPKiS5_PKS2_iS7_PS2_PiS9_S9_21rocsparse_index_base_20rocsparse_diag_type_20rocsparse_direction_b,comdat
	.globl	_ZN9rocsparseL18bsrsv_lower_sharedILj128ELj64ELi8ELb1EfEEviNS_24const_host_device_scalarIT3_EEPKiS5_PKS2_iS7_PS2_PiS9_S9_21rocsparse_index_base_20rocsparse_diag_type_20rocsparse_direction_b ; -- Begin function _ZN9rocsparseL18bsrsv_lower_sharedILj128ELj64ELi8ELb1EfEEviNS_24const_host_device_scalarIT3_EEPKiS5_PKS2_iS7_PS2_PiS9_S9_21rocsparse_index_base_20rocsparse_diag_type_20rocsparse_direction_b
	.p2align	8
	.type	_ZN9rocsparseL18bsrsv_lower_sharedILj128ELj64ELi8ELb1EfEEviNS_24const_host_device_scalarIT3_EEPKiS5_PKS2_iS7_PS2_PiS9_S9_21rocsparse_index_base_20rocsparse_diag_type_20rocsparse_direction_b,@function
_ZN9rocsparseL18bsrsv_lower_sharedILj128ELj64ELi8ELb1EfEEviNS_24const_host_device_scalarIT3_EEPKiS5_PKS2_iS7_PS2_PiS9_S9_21rocsparse_index_base_20rocsparse_diag_type_20rocsparse_direction_b: ; @_ZN9rocsparseL18bsrsv_lower_sharedILj128ELj64ELi8ELb1EfEEviNS_24const_host_device_scalarIT3_EEPKiS5_PKS2_iS7_PS2_PiS9_S9_21rocsparse_index_base_20rocsparse_diag_type_20rocsparse_direction_b
; %bb.0:
	s_load_dwordx4 s[8:11], s[4:5], 0x58
	s_load_dwordx2 s[2:3], s[4:5], 0x8
	s_waitcnt lgkmcnt(0)
	s_bitcmp1_b32 s11, 0
	s_cselect_b64 s[0:1], -1, 0
	s_and_b64 vcc, exec, s[0:1]
	s_cbranch_vccnz .LBB3_2
; %bb.1:
	s_load_dword s2, s[2:3], 0x0
.LBB3_2:
	s_nop 0
	s_load_dword s3, s[4:5], 0x0
	s_lshl_b32 s0, s6, 1
	v_lshrrev_b32_e32 v7, 6, v0
	s_and_b32 s0, s0, 0x3fffffe
	v_or_b32_e32 v1, s0, v7
	s_waitcnt lgkmcnt(0)
	v_cmp_gt_i32_e32 vcc, s3, v1
	s_and_saveexec_b64 s[0:1], vcc
	s_cbranch_execz .LBB3_31
; %bb.3:
	s_load_dwordx2 s[0:1], s[4:5], 0x48
	s_load_dwordx4 s[12:15], s[4:5], 0x38
	v_lshlrev_b32_e32 v1, 2, v1
	v_mov_b32_e32 v8, 0
	s_waitcnt lgkmcnt(0)
	global_load_dword v1, v1, s[0:1]
	s_load_dwordx2 s[0:1], s[4:5], 0x10
	s_load_dword s33, s[4:5], 0x28
	s_waitcnt lgkmcnt(0)
	v_mov_b32_e32 v5, s1
	s_waitcnt vmcnt(0)
	v_ashrrev_i32_e32 v2, 31, v1
	v_lshlrev_b64 v[2:3], 2, v[1:2]
	v_add_co_u32_e32 v4, vcc, s0, v2
	v_addc_co_u32_e32 v5, vcc, v5, v3, vcc
	global_load_dwordx2 v[5:6], v[4:5], off
	v_and_b32_e32 v4, 63, v0
	v_cmp_gt_i32_e64 s[0:1], s33, v4
	s_and_saveexec_b64 s[6:7], s[0:1]
	s_cbranch_execz .LBB3_5
; %bb.4:
	s_waitcnt vmcnt(0)
	v_mad_u64_u32 v[8:9], s[16:17], v1, s33, v[4:5]
	s_load_dwordx2 s[16:17], s[4:5], 0x30
	v_ashrrev_i32_e32 v9, 31, v8
	v_lshlrev_b64 v[8:9], 2, v[8:9]
	s_waitcnt lgkmcnt(0)
	v_mov_b32_e32 v10, s17
	v_add_co_u32_e32 v8, vcc, s16, v8
	v_addc_co_u32_e32 v9, vcc, v10, v9, vcc
	global_load_dword v8, v[8:9], off
.LBB3_5:
	s_or_b64 exec, exec, s[6:7]
	s_load_dwordx2 s[20:21], s[4:5], 0x50
	s_waitcnt vmcnt(0)
	v_mul_f32_e32 v11, s2, v8
	v_and_b32_e32 v8, 64, v0
	v_lshlrev_b32_e32 v12, 2, v8
	v_cmp_lt_i32_e32 vcc, v5, v6
	v_mov_b32_e32 v8, s3
	s_and_saveexec_b64 s[22:23], vcc
	s_cbranch_execz .LBB3_28
; %bb.6:
	s_load_dwordx4 s[16:19], s[4:5], 0x18
	v_mov_b32_e32 v8, 0x200
	v_lshl_or_b32 v13, v7, 5, v8
	v_and_b32_e32 v0, 7, v0
	v_lshrrev_b32_e32 v7, 3, v4
	v_lshlrev_b32_e32 v8, 2, v4
	v_add_u32_e32 v15, v13, v8
	v_add_u32_e32 v16, v12, v8
	v_max_i32_e32 v8, v0, v7
	v_subrev_u32_e32 v14, s8, v6
	s_cmp_lg_u32 s10, 0
	v_lshl_add_u32 v6, v0, 2, v12
	v_cmp_gt_i32_e64 s[4:5], s33, v8
	v_lshlrev_b32_e32 v8, 5, v7
	v_subrev_u32_e32 v5, s8, v5
	s_cselect_b64 s[10:11], -1, 0
	v_cmp_gt_u32_e64 s[2:3], 8, v4
	s_mov_b64 s[24:25], 0
	s_waitcnt lgkmcnt(0)
	v_mov_b32_e32 v17, s17
	v_add_u32_e32 v18, v6, v8
	s_branch .LBB3_9
.LBB3_7:                                ;   in Loop: Header=BB3_9 Depth=1
	s_or_b64 exec, exec, s[6:7]
.LBB3_8:                                ;   in Loop: Header=BB3_9 Depth=1
	s_or_b64 exec, exec, s[26:27]
	v_add_u32_e32 v5, 1, v5
	v_cmp_ge_i32_e64 s[6:7], v5, v14
	s_xor_b64 s[26:27], vcc, -1
	s_or_b64 s[6:7], s[26:27], s[6:7]
	s_and_b64 s[6:7], exec, s[6:7]
	s_or_b64 s[24:25], s[6:7], s[24:25]
	s_andn2_b64 exec, exec, s[24:25]
	s_cbranch_execz .LBB3_27
.LBB3_9:                                ; =>This Loop Header: Depth=1
                                        ;     Child Loop BB3_18 Depth 2
                                        ;       Child Loop BB3_19 Depth 3
	v_ashrrev_i32_e32 v6, 31, v5
	v_lshlrev_b64 v[8:9], 2, v[5:6]
	v_add_co_u32_e32 v8, vcc, s16, v8
	v_addc_co_u32_e32 v9, vcc, v17, v9, vcc
	global_load_dword v6, v[8:9], off
	v_mov_b32_e32 v9, 0
	s_and_saveexec_b64 s[6:7], s[4:5]
	s_cbranch_execz .LBB3_14
; %bb.10:                               ;   in Loop: Header=BB3_9 Depth=1
	v_mul_lo_u32 v10, v5, s33
	s_and_b64 vcc, exec, s[10:11]
	s_cbranch_vccz .LBB3_26
; %bb.11:                               ;   in Loop: Header=BB3_9 Depth=1
	v_add_u32_e32 v8, v10, v7
	v_mad_u64_u32 v[8:9], s[26:27], v8, s33, v[0:1]
	s_cbranch_execnz .LBB3_13
.LBB3_12:                               ;   in Loop: Header=BB3_9 Depth=1
	v_add_u32_e32 v8, v10, v0
	v_mad_u64_u32 v[8:9], s[26:27], v8, s33, v[7:8]
.LBB3_13:                               ;   in Loop: Header=BB3_9 Depth=1
	v_ashrrev_i32_e32 v9, 31, v8
	v_lshlrev_b64 v[8:9], 2, v[8:9]
	v_mov_b32_e32 v10, s19
	v_add_co_u32_e32 v8, vcc, s18, v8
	v_addc_co_u32_e32 v9, vcc, v10, v9, vcc
	global_load_dword v9, v[8:9], off
.LBB3_14:                               ;   in Loop: Header=BB3_9 Depth=1
	s_or_b64 exec, exec, s[6:7]
	s_waitcnt vmcnt(0)
	v_subrev_u32_e32 v8, s8, v6
	v_cmp_lt_i32_e32 vcc, v8, v1
	ds_write_b32 v18, v9
	s_and_saveexec_b64 s[26:27], vcc
	s_cbranch_execz .LBB3_8
; %bb.15:                               ;   in Loop: Header=BB3_9 Depth=1
	v_ashrrev_i32_e32 v9, 31, v8
	v_lshlrev_b64 v[9:10], 2, v[8:9]
	v_mov_b32_e32 v6, s15
	v_add_co_u32_e64 v9, s[6:7], s14, v9
	v_addc_co_u32_e64 v10, s[6:7], v6, v10, s[6:7]
	global_load_dword v6, v[9:10], off glc
	s_waitcnt vmcnt(0)
	v_cmp_eq_u32_e64 s[6:7], 0, v6
	s_and_saveexec_b64 s[28:29], s[6:7]
	s_cbranch_execz .LBB3_20
; %bb.16:                               ;   in Loop: Header=BB3_9 Depth=1
	s_mov_b32 s17, 0
	s_mov_b64 s[30:31], 0
	s_branch .LBB3_18
.LBB3_17:                               ;   in Loop: Header=BB3_18 Depth=2
	global_load_dword v6, v[9:10], off glc
	s_cmpk_lt_u32 s17, 0xf43
	s_cselect_b64 s[6:7], -1, 0
	s_cmp_lg_u64 s[6:7], 0
	s_addc_u32 s17, s17, 0
	s_waitcnt vmcnt(0)
	v_cmp_ne_u32_e64 s[6:7], 0, v6
	s_or_b64 s[30:31], s[6:7], s[30:31]
	s_andn2_b64 exec, exec, s[30:31]
	s_cbranch_execz .LBB3_20
.LBB3_18:                               ;   Parent Loop BB3_9 Depth=1
                                        ; =>  This Loop Header: Depth=2
                                        ;       Child Loop BB3_19 Depth 3
	s_cmp_eq_u32 s17, 0
	s_mov_b32 s6, s17
	s_cbranch_scc1 .LBB3_17
.LBB3_19:                               ;   Parent Loop BB3_9 Depth=1
                                        ;     Parent Loop BB3_18 Depth=2
                                        ; =>    This Inner Loop Header: Depth=3
	s_add_i32 s6, s6, -1
	s_cmp_eq_u32 s6, 0
	s_sleep 1
	s_cbranch_scc0 .LBB3_19
	s_branch .LBB3_17
.LBB3_20:                               ;   in Loop: Header=BB3_9 Depth=1
	s_or_b64 exec, exec, s[28:29]
	s_waitcnt lgkmcnt(0)
	buffer_wbinvl1_vol
	s_and_saveexec_b64 s[28:29], s[2:3]
	s_cbranch_execz .LBB3_24
; %bb.21:                               ;   in Loop: Header=BB3_9 Depth=1
	v_mov_b32_e32 v6, 0
	s_and_saveexec_b64 s[30:31], s[0:1]
	s_cbranch_execz .LBB3_23
; %bb.22:                               ;   in Loop: Header=BB3_9 Depth=1
	v_mad_u64_u32 v[9:10], s[6:7], v8, s33, v[4:5]
	v_mov_b32_e32 v6, s13
	v_ashrrev_i32_e32 v10, 31, v9
	v_lshlrev_b64 v[9:10], 2, v[9:10]
	v_add_co_u32_e64 v9, s[6:7], s12, v9
	v_addc_co_u32_e64 v10, s[6:7], v6, v10, s[6:7]
	global_load_dword v6, v[9:10], off
.LBB3_23:                               ;   in Loop: Header=BB3_9 Depth=1
	s_or_b64 exec, exec, s[30:31]
	s_waitcnt vmcnt(0)
	ds_write_b32 v15, v6
.LBB3_24:                               ;   in Loop: Header=BB3_9 Depth=1
	s_or_b64 exec, exec, s[28:29]
	s_waitcnt lgkmcnt(0)
	s_and_saveexec_b64 s[6:7], s[0:1]
	s_cbranch_execz .LBB3_7
; %bb.25:                               ;   in Loop: Header=BB3_9 Depth=1
	ds_read2_b32 v[9:10], v16 offset1:8
	ds_read_b128 v[19:22], v13
	ds_read_b128 v[23:26], v13 offset:16
	ds_read2_b32 v[27:28], v16 offset0:16 offset1:24
	ds_read2_b32 v[29:30], v16 offset0:32 offset1:40
	s_waitcnt lgkmcnt(3)
	v_fma_f32 v6, -v9, v19, v11
	v_fma_f32 v6, -v10, v20, v6
	ds_read2_b32 v[9:10], v16 offset0:48 offset1:56
	s_waitcnt lgkmcnt(2)
	v_fma_f32 v6, -v27, v21, v6
	v_fma_f32 v6, -v28, v22, v6
	s_waitcnt lgkmcnt(1)
	v_fma_f32 v6, -v29, v23, v6
	v_fma_f32 v6, -v30, v24, v6
	;; [unrolled: 3-line block ×3, first 2 shown]
	s_branch .LBB3_7
.LBB3_26:                               ;   in Loop: Header=BB3_9 Depth=1
                                        ; implicit-def: $vgpr8
	s_branch .LBB3_12
.LBB3_27:
	s_or_b64 exec, exec, s[24:25]
.LBB3_28:
	s_or_b64 exec, exec, s[22:23]
	s_cmp_gt_i32 s33, 0
	v_cmp_eq_u32_e32 vcc, v8, v1
	s_cselect_b64 s[2:3], -1, 0
	s_mov_b32 s22, 0
	s_and_b64 s[4:5], s[2:3], vcc
	s_mov_b64 s[2:3], 0
	s_and_saveexec_b64 s[6:7], s[4:5]
	s_cbranch_execnz .LBB3_32
; %bb.29:
	s_or_b64 exec, exec, s[6:7]
	s_and_saveexec_b64 s[4:5], s[0:1]
	s_cbranch_execnz .LBB3_43
.LBB3_30:
	s_or_b64 exec, exec, s[4:5]
	v_cmp_eq_u32_e32 vcc, 0, v4
	s_and_b64 exec, exec, vcc
	s_cbranch_execnz .LBB3_44
.LBB3_31:
	s_endpgm
.LBB3_32:
	s_cmp_eq_u32 s9, 0
	v_mbcnt_lo_u32_b32 v0, -1, 0
	s_cselect_b64 s[2:3], -1, 0
	v_mbcnt_hi_u32_b32 v0, -1, v0
	v_cndmask_b32_e64 v6, 0, 1, s[2:3]
	v_and_b32_e32 v0, 64, v0
	v_lshl_add_u32 v5, v4, 2, v12
	s_mov_b64 s[10:11], 0
	v_cmp_ne_u32_e64 s[2:3], 1, v6
	s_branch .LBB3_35
.LBB3_33:                               ;   in Loop: Header=BB3_35 Depth=1
	s_or_b64 exec, exec, s[18:19]
.LBB3_34:                               ;   in Loop: Header=BB3_35 Depth=1
	s_or_b64 exec, exec, s[16:17]
	s_or_b64 s[10:11], s[4:5], s[10:11]
	s_add_i32 s22, s22, 1
	v_add_u32_e32 v5, 32, v5
	s_cmp_lg_u32 s33, s22
	v_add_u32_e32 v12, 36, v12
	s_cbranch_scc0 .LBB3_42
.LBB3_35:                               ; =>This Inner Loop Header: Depth=1
	s_and_b64 vcc, exec, s[2:3]
	v_mov_b32_e32 v6, 1.0
	s_cbranch_vccnz .LBB3_37
; %bb.36:                               ;   in Loop: Header=BB3_35 Depth=1
	ds_read_b32 v6, v12
.LBB3_37:                               ;   in Loop: Header=BB3_35 Depth=1
	v_and_or_b32 v7, s22, 63, v0
	v_lshlrev_b32_e32 v7, 2, v7
	ds_bpermute_b32 v7, v7, v11
	s_waitcnt lgkmcnt(0)
	v_cmp_eq_f32_e64 s[4:5], 0, v6
	s_and_saveexec_b64 s[16:17], s[0:1]
	s_cbranch_execz .LBB3_34
; %bb.38:                               ;   in Loop: Header=BB3_35 Depth=1
	v_div_scale_f32 v8, s[18:19], v6, v6, v7
	v_div_scale_f32 v9, vcc, v7, v6, v7
	v_rcp_f32_e32 v10, v8
	v_fma_f32 v13, -v8, v10, 1.0
	v_fmac_f32_e32 v10, v13, v10
	v_mul_f32_e32 v13, v9, v10
	v_fma_f32 v14, -v8, v13, v9
	v_fmac_f32_e32 v13, v14, v10
	v_fma_f32 v8, -v8, v13, v9
	v_div_fmas_f32 v8, v8, v10, v13
	v_cmp_ge_u32_e32 vcc, s22, v4
	v_div_fixup_f32 v6, v8, v6, v7
	v_cndmask_b32_e64 v6, v6, v7, s[4:5]
	s_and_saveexec_b64 s[18:19], vcc
	s_xor_b64 s[18:19], exec, s[18:19]
; %bb.39:                               ;   in Loop: Header=BB3_35 Depth=1
	v_cmp_eq_u32_e32 vcc, s22, v4
	v_cndmask_b32_e32 v11, v11, v6, vcc
                                        ; implicit-def: $vgpr6
; %bb.40:                               ;   in Loop: Header=BB3_35 Depth=1
	s_andn2_saveexec_b64 s[18:19], s[18:19]
	s_cbranch_execz .LBB3_33
; %bb.41:                               ;   in Loop: Header=BB3_35 Depth=1
	ds_read_b32 v7, v5
	s_waitcnt lgkmcnt(0)
	v_fma_f32 v11, -v6, v7, v11
	s_branch .LBB3_33
.LBB3_42:
	s_and_b64 s[2:3], s[10:11], exec
	s_or_b64 exec, exec, s[6:7]
	s_and_saveexec_b64 s[4:5], s[0:1]
	s_cbranch_execz .LBB3_30
.LBB3_43:
	v_mad_u64_u32 v[5:6], s[0:1], v1, s33, v[4:5]
	v_mov_b32_e32 v0, s13
	v_ashrrev_i32_e32 v6, 31, v5
	v_lshlrev_b64 v[5:6], 2, v[5:6]
	v_add_co_u32_e32 v5, vcc, s12, v5
	v_addc_co_u32_e32 v6, vcc, v0, v6, vcc
	global_store_dword v[5:6], v11, off
	s_or_b64 exec, exec, s[4:5]
	v_cmp_eq_u32_e32 vcc, 0, v4
	s_and_b64 exec, exec, vcc
	s_cbranch_execz .LBB3_31
.LBB3_44:
	v_mov_b32_e32 v0, s15
	v_add_co_u32_e32 v2, vcc, s14, v2
	v_addc_co_u32_e32 v3, vcc, v0, v3, vcc
	v_mov_b32_e32 v0, 1
	s_waitcnt vmcnt(0) lgkmcnt(0)
	global_store_dword v[2:3], v0, off
	s_and_b64 exec, exec, s[2:3]
	s_cbranch_execz .LBB3_31
; %bb.45:
	s_mov_b64 s[0:1], exec
	v_add_u32_e32 v0, s8, v1
	s_brev_b32 s2, -2
.LBB3_46:                               ; =>This Inner Loop Header: Depth=1
	s_ff1_i32_b64 s3, s[0:1]
	v_readlane_b32 s6, v0, s3
	s_lshl_b64 s[4:5], 1, s3
	s_min_i32 s2, s2, s6
	s_andn2_b64 s[0:1], s[0:1], s[4:5]
	s_cmp_lg_u64 s[0:1], 0
	s_cbranch_scc1 .LBB3_46
; %bb.47:
	v_mbcnt_lo_u32_b32 v0, exec_lo, 0
	v_mbcnt_hi_u32_b32 v0, exec_hi, v0
	v_cmp_eq_u32_e32 vcc, 0, v0
	s_and_saveexec_b64 s[0:1], vcc
	s_xor_b64 s[0:1], exec, s[0:1]
	s_cbranch_execz .LBB3_31
; %bb.48:
	v_mov_b32_e32 v0, 0
	v_mov_b32_e32 v1, s2
	global_atomic_smin v0, v1, s[20:21]
	s_endpgm
	.section	.rodata,"a",@progbits
	.p2align	6, 0x0
	.amdhsa_kernel _ZN9rocsparseL18bsrsv_lower_sharedILj128ELj64ELi8ELb1EfEEviNS_24const_host_device_scalarIT3_EEPKiS5_PKS2_iS7_PS2_PiS9_S9_21rocsparse_index_base_20rocsparse_diag_type_20rocsparse_direction_b
		.amdhsa_group_segment_fixed_size 576
		.amdhsa_private_segment_fixed_size 0
		.amdhsa_kernarg_size 104
		.amdhsa_user_sgpr_count 6
		.amdhsa_user_sgpr_private_segment_buffer 1
		.amdhsa_user_sgpr_dispatch_ptr 0
		.amdhsa_user_sgpr_queue_ptr 0
		.amdhsa_user_sgpr_kernarg_segment_ptr 1
		.amdhsa_user_sgpr_dispatch_id 0
		.amdhsa_user_sgpr_flat_scratch_init 0
		.amdhsa_user_sgpr_private_segment_size 0
		.amdhsa_uses_dynamic_stack 0
		.amdhsa_system_sgpr_private_segment_wavefront_offset 0
		.amdhsa_system_sgpr_workgroup_id_x 1
		.amdhsa_system_sgpr_workgroup_id_y 0
		.amdhsa_system_sgpr_workgroup_id_z 0
		.amdhsa_system_sgpr_workgroup_info 0
		.amdhsa_system_vgpr_workitem_id 0
		.amdhsa_next_free_vgpr 31
		.amdhsa_next_free_sgpr 34
		.amdhsa_reserve_vcc 1
		.amdhsa_reserve_flat_scratch 0
		.amdhsa_float_round_mode_32 0
		.amdhsa_float_round_mode_16_64 0
		.amdhsa_float_denorm_mode_32 3
		.amdhsa_float_denorm_mode_16_64 3
		.amdhsa_dx10_clamp 1
		.amdhsa_ieee_mode 1
		.amdhsa_fp16_overflow 0
		.amdhsa_exception_fp_ieee_invalid_op 0
		.amdhsa_exception_fp_denorm_src 0
		.amdhsa_exception_fp_ieee_div_zero 0
		.amdhsa_exception_fp_ieee_overflow 0
		.amdhsa_exception_fp_ieee_underflow 0
		.amdhsa_exception_fp_ieee_inexact 0
		.amdhsa_exception_int_div_zero 0
	.end_amdhsa_kernel
	.section	.text._ZN9rocsparseL18bsrsv_lower_sharedILj128ELj64ELi8ELb1EfEEviNS_24const_host_device_scalarIT3_EEPKiS5_PKS2_iS7_PS2_PiS9_S9_21rocsparse_index_base_20rocsparse_diag_type_20rocsparse_direction_b,"axG",@progbits,_ZN9rocsparseL18bsrsv_lower_sharedILj128ELj64ELi8ELb1EfEEviNS_24const_host_device_scalarIT3_EEPKiS5_PKS2_iS7_PS2_PiS9_S9_21rocsparse_index_base_20rocsparse_diag_type_20rocsparse_direction_b,comdat
.Lfunc_end3:
	.size	_ZN9rocsparseL18bsrsv_lower_sharedILj128ELj64ELi8ELb1EfEEviNS_24const_host_device_scalarIT3_EEPKiS5_PKS2_iS7_PS2_PiS9_S9_21rocsparse_index_base_20rocsparse_diag_type_20rocsparse_direction_b, .Lfunc_end3-_ZN9rocsparseL18bsrsv_lower_sharedILj128ELj64ELi8ELb1EfEEviNS_24const_host_device_scalarIT3_EEPKiS5_PKS2_iS7_PS2_PiS9_S9_21rocsparse_index_base_20rocsparse_diag_type_20rocsparse_direction_b
                                        ; -- End function
	.set _ZN9rocsparseL18bsrsv_lower_sharedILj128ELj64ELi8ELb1EfEEviNS_24const_host_device_scalarIT3_EEPKiS5_PKS2_iS7_PS2_PiS9_S9_21rocsparse_index_base_20rocsparse_diag_type_20rocsparse_direction_b.num_vgpr, 31
	.set _ZN9rocsparseL18bsrsv_lower_sharedILj128ELj64ELi8ELb1EfEEviNS_24const_host_device_scalarIT3_EEPKiS5_PKS2_iS7_PS2_PiS9_S9_21rocsparse_index_base_20rocsparse_diag_type_20rocsparse_direction_b.num_agpr, 0
	.set _ZN9rocsparseL18bsrsv_lower_sharedILj128ELj64ELi8ELb1EfEEviNS_24const_host_device_scalarIT3_EEPKiS5_PKS2_iS7_PS2_PiS9_S9_21rocsparse_index_base_20rocsparse_diag_type_20rocsparse_direction_b.numbered_sgpr, 34
	.set _ZN9rocsparseL18bsrsv_lower_sharedILj128ELj64ELi8ELb1EfEEviNS_24const_host_device_scalarIT3_EEPKiS5_PKS2_iS7_PS2_PiS9_S9_21rocsparse_index_base_20rocsparse_diag_type_20rocsparse_direction_b.num_named_barrier, 0
	.set _ZN9rocsparseL18bsrsv_lower_sharedILj128ELj64ELi8ELb1EfEEviNS_24const_host_device_scalarIT3_EEPKiS5_PKS2_iS7_PS2_PiS9_S9_21rocsparse_index_base_20rocsparse_diag_type_20rocsparse_direction_b.private_seg_size, 0
	.set _ZN9rocsparseL18bsrsv_lower_sharedILj128ELj64ELi8ELb1EfEEviNS_24const_host_device_scalarIT3_EEPKiS5_PKS2_iS7_PS2_PiS9_S9_21rocsparse_index_base_20rocsparse_diag_type_20rocsparse_direction_b.uses_vcc, 1
	.set _ZN9rocsparseL18bsrsv_lower_sharedILj128ELj64ELi8ELb1EfEEviNS_24const_host_device_scalarIT3_EEPKiS5_PKS2_iS7_PS2_PiS9_S9_21rocsparse_index_base_20rocsparse_diag_type_20rocsparse_direction_b.uses_flat_scratch, 0
	.set _ZN9rocsparseL18bsrsv_lower_sharedILj128ELj64ELi8ELb1EfEEviNS_24const_host_device_scalarIT3_EEPKiS5_PKS2_iS7_PS2_PiS9_S9_21rocsparse_index_base_20rocsparse_diag_type_20rocsparse_direction_b.has_dyn_sized_stack, 0
	.set _ZN9rocsparseL18bsrsv_lower_sharedILj128ELj64ELi8ELb1EfEEviNS_24const_host_device_scalarIT3_EEPKiS5_PKS2_iS7_PS2_PiS9_S9_21rocsparse_index_base_20rocsparse_diag_type_20rocsparse_direction_b.has_recursion, 0
	.set _ZN9rocsparseL18bsrsv_lower_sharedILj128ELj64ELi8ELb1EfEEviNS_24const_host_device_scalarIT3_EEPKiS5_PKS2_iS7_PS2_PiS9_S9_21rocsparse_index_base_20rocsparse_diag_type_20rocsparse_direction_b.has_indirect_call, 0
	.section	.AMDGPU.csdata,"",@progbits
; Kernel info:
; codeLenInByte = 1572
; TotalNumSgprs: 38
; NumVgprs: 31
; ScratchSize: 0
; MemoryBound: 0
; FloatMode: 240
; IeeeMode: 1
; LDSByteSize: 576 bytes/workgroup (compile time only)
; SGPRBlocks: 4
; VGPRBlocks: 7
; NumSGPRsForWavesPerEU: 38
; NumVGPRsForWavesPerEU: 31
; Occupancy: 8
; WaveLimiterHint : 1
; COMPUTE_PGM_RSRC2:SCRATCH_EN: 0
; COMPUTE_PGM_RSRC2:USER_SGPR: 6
; COMPUTE_PGM_RSRC2:TRAP_HANDLER: 0
; COMPUTE_PGM_RSRC2:TGID_X_EN: 1
; COMPUTE_PGM_RSRC2:TGID_Y_EN: 0
; COMPUTE_PGM_RSRC2:TGID_Z_EN: 0
; COMPUTE_PGM_RSRC2:TIDIG_COMP_CNT: 0
	.section	.text._ZN9rocsparseL18bsrsv_lower_sharedILj128ELj64ELi8ELb0EfEEviNS_24const_host_device_scalarIT3_EEPKiS5_PKS2_iS7_PS2_PiS9_S9_21rocsparse_index_base_20rocsparse_diag_type_20rocsparse_direction_b,"axG",@progbits,_ZN9rocsparseL18bsrsv_lower_sharedILj128ELj64ELi8ELb0EfEEviNS_24const_host_device_scalarIT3_EEPKiS5_PKS2_iS7_PS2_PiS9_S9_21rocsparse_index_base_20rocsparse_diag_type_20rocsparse_direction_b,comdat
	.globl	_ZN9rocsparseL18bsrsv_lower_sharedILj128ELj64ELi8ELb0EfEEviNS_24const_host_device_scalarIT3_EEPKiS5_PKS2_iS7_PS2_PiS9_S9_21rocsparse_index_base_20rocsparse_diag_type_20rocsparse_direction_b ; -- Begin function _ZN9rocsparseL18bsrsv_lower_sharedILj128ELj64ELi8ELb0EfEEviNS_24const_host_device_scalarIT3_EEPKiS5_PKS2_iS7_PS2_PiS9_S9_21rocsparse_index_base_20rocsparse_diag_type_20rocsparse_direction_b
	.p2align	8
	.type	_ZN9rocsparseL18bsrsv_lower_sharedILj128ELj64ELi8ELb0EfEEviNS_24const_host_device_scalarIT3_EEPKiS5_PKS2_iS7_PS2_PiS9_S9_21rocsparse_index_base_20rocsparse_diag_type_20rocsparse_direction_b,@function
_ZN9rocsparseL18bsrsv_lower_sharedILj128ELj64ELi8ELb0EfEEviNS_24const_host_device_scalarIT3_EEPKiS5_PKS2_iS7_PS2_PiS9_S9_21rocsparse_index_base_20rocsparse_diag_type_20rocsparse_direction_b: ; @_ZN9rocsparseL18bsrsv_lower_sharedILj128ELj64ELi8ELb0EfEEviNS_24const_host_device_scalarIT3_EEPKiS5_PKS2_iS7_PS2_PiS9_S9_21rocsparse_index_base_20rocsparse_diag_type_20rocsparse_direction_b
; %bb.0:
	s_load_dwordx4 s[8:11], s[4:5], 0x58
	s_load_dwordx2 s[2:3], s[4:5], 0x8
	s_waitcnt lgkmcnt(0)
	s_bitcmp1_b32 s11, 0
	s_cselect_b64 s[0:1], -1, 0
	s_and_b64 vcc, exec, s[0:1]
	s_cbranch_vccnz .LBB4_2
; %bb.1:
	s_load_dword s2, s[2:3], 0x0
.LBB4_2:
	s_nop 0
	s_load_dword s3, s[4:5], 0x0
	s_lshl_b32 s0, s6, 1
	v_lshrrev_b32_e32 v7, 6, v0
	s_and_b32 s0, s0, 0x3fffffe
	v_or_b32_e32 v1, s0, v7
	s_waitcnt lgkmcnt(0)
	v_cmp_gt_i32_e32 vcc, s3, v1
	s_and_saveexec_b64 s[0:1], vcc
	s_cbranch_execz .LBB4_29
; %bb.3:
	s_load_dwordx2 s[0:1], s[4:5], 0x48
	s_load_dwordx4 s[12:15], s[4:5], 0x38
	v_lshlrev_b32_e32 v1, 2, v1
	v_mov_b32_e32 v8, 0
	s_waitcnt lgkmcnt(0)
	global_load_dword v1, v1, s[0:1]
	s_load_dwordx2 s[0:1], s[4:5], 0x10
	s_load_dword s33, s[4:5], 0x28
	s_waitcnt lgkmcnt(0)
	v_mov_b32_e32 v5, s1
	s_waitcnt vmcnt(0)
	v_ashrrev_i32_e32 v2, 31, v1
	v_lshlrev_b64 v[2:3], 2, v[1:2]
	v_add_co_u32_e32 v4, vcc, s0, v2
	v_addc_co_u32_e32 v5, vcc, v5, v3, vcc
	global_load_dwordx2 v[5:6], v[4:5], off
	v_and_b32_e32 v4, 63, v0
	v_cmp_gt_i32_e64 s[0:1], s33, v4
	s_and_saveexec_b64 s[6:7], s[0:1]
	s_cbranch_execz .LBB4_5
; %bb.4:
	s_waitcnt vmcnt(0)
	v_mad_u64_u32 v[8:9], s[16:17], v1, s33, v[4:5]
	s_load_dwordx2 s[16:17], s[4:5], 0x30
	v_ashrrev_i32_e32 v9, 31, v8
	v_lshlrev_b64 v[8:9], 2, v[8:9]
	s_waitcnt lgkmcnt(0)
	v_mov_b32_e32 v10, s17
	v_add_co_u32_e32 v8, vcc, s16, v8
	v_addc_co_u32_e32 v9, vcc, v10, v9, vcc
	global_load_dword v8, v[8:9], off
.LBB4_5:
	s_or_b64 exec, exec, s[6:7]
	s_load_dwordx2 s[20:21], s[4:5], 0x50
	s_waitcnt vmcnt(0)
	v_mul_f32_e32 v11, s2, v8
	v_and_b32_e32 v8, 64, v0
	v_lshlrev_b32_e32 v12, 2, v8
	v_cmp_lt_i32_e32 vcc, v5, v6
	v_mov_b32_e32 v8, s3
	s_and_saveexec_b64 s[22:23], vcc
	s_cbranch_execz .LBB4_26
; %bb.6:
	s_load_dwordx4 s[16:19], s[4:5], 0x18
	v_mov_b32_e32 v8, 0x200
	v_lshl_or_b32 v13, v7, 5, v8
	v_and_b32_e32 v0, 7, v0
	v_lshrrev_b32_e32 v7, 3, v4
	v_lshlrev_b32_e32 v8, 2, v4
	v_add_u32_e32 v15, v13, v8
	v_add_u32_e32 v16, v12, v8
	v_max_i32_e32 v8, v0, v7
	v_subrev_u32_e32 v14, s8, v6
	s_cmp_lg_u32 s10, 0
	v_lshl_add_u32 v6, v0, 2, v12
	v_cmp_gt_i32_e64 s[4:5], s33, v8
	v_lshlrev_b32_e32 v8, 5, v7
	v_subrev_u32_e32 v5, s8, v5
	s_cselect_b64 s[10:11], -1, 0
	v_cmp_gt_u32_e64 s[2:3], 8, v4
	s_mov_b64 s[24:25], 0
	s_waitcnt lgkmcnt(0)
	v_mov_b32_e32 v17, s17
	v_add_u32_e32 v18, v6, v8
	s_branch .LBB4_9
.LBB4_7:                                ;   in Loop: Header=BB4_9 Depth=1
	s_or_b64 exec, exec, s[6:7]
.LBB4_8:                                ;   in Loop: Header=BB4_9 Depth=1
	s_or_b64 exec, exec, s[26:27]
	v_add_u32_e32 v5, 1, v5
	v_cmp_ge_i32_e64 s[6:7], v5, v14
	s_xor_b64 s[26:27], vcc, -1
	s_or_b64 s[6:7], s[26:27], s[6:7]
	s_and_b64 s[6:7], exec, s[6:7]
	s_or_b64 s[24:25], s[6:7], s[24:25]
	s_andn2_b64 exec, exec, s[24:25]
	s_cbranch_execz .LBB4_25
.LBB4_9:                                ; =>This Loop Header: Depth=1
                                        ;     Child Loop BB4_17 Depth 2
	v_ashrrev_i32_e32 v6, 31, v5
	v_lshlrev_b64 v[8:9], 2, v[5:6]
	v_add_co_u32_e32 v8, vcc, s16, v8
	v_addc_co_u32_e32 v9, vcc, v17, v9, vcc
	global_load_dword v6, v[8:9], off
	v_mov_b32_e32 v9, 0
	s_and_saveexec_b64 s[6:7], s[4:5]
	s_cbranch_execz .LBB4_14
; %bb.10:                               ;   in Loop: Header=BB4_9 Depth=1
	v_mul_lo_u32 v10, v5, s33
	s_and_b64 vcc, exec, s[10:11]
	s_cbranch_vccz .LBB4_24
; %bb.11:                               ;   in Loop: Header=BB4_9 Depth=1
	v_add_u32_e32 v8, v10, v7
	v_mad_u64_u32 v[8:9], s[26:27], v8, s33, v[0:1]
	s_cbranch_execnz .LBB4_13
.LBB4_12:                               ;   in Loop: Header=BB4_9 Depth=1
	v_add_u32_e32 v8, v10, v0
	v_mad_u64_u32 v[8:9], s[26:27], v8, s33, v[7:8]
.LBB4_13:                               ;   in Loop: Header=BB4_9 Depth=1
	v_ashrrev_i32_e32 v9, 31, v8
	v_lshlrev_b64 v[8:9], 2, v[8:9]
	v_mov_b32_e32 v10, s19
	v_add_co_u32_e32 v8, vcc, s18, v8
	v_addc_co_u32_e32 v9, vcc, v10, v9, vcc
	global_load_dword v9, v[8:9], off
.LBB4_14:                               ;   in Loop: Header=BB4_9 Depth=1
	s_or_b64 exec, exec, s[6:7]
	s_waitcnt vmcnt(0)
	v_subrev_u32_e32 v8, s8, v6
	v_cmp_lt_i32_e32 vcc, v8, v1
	ds_write_b32 v18, v9
	s_and_saveexec_b64 s[26:27], vcc
	s_cbranch_execz .LBB4_8
; %bb.15:                               ;   in Loop: Header=BB4_9 Depth=1
	v_ashrrev_i32_e32 v9, 31, v8
	v_lshlrev_b64 v[9:10], 2, v[8:9]
	v_mov_b32_e32 v6, s15
	v_add_co_u32_e64 v9, s[6:7], s14, v9
	v_addc_co_u32_e64 v10, s[6:7], v6, v10, s[6:7]
	global_load_dword v6, v[9:10], off glc
	s_waitcnt vmcnt(0)
	v_cmp_eq_u32_e64 s[6:7], 0, v6
	s_and_saveexec_b64 s[28:29], s[6:7]
	s_cbranch_execz .LBB4_18
; %bb.16:                               ;   in Loop: Header=BB4_9 Depth=1
	s_mov_b64 s[30:31], 0
.LBB4_17:                               ;   Parent Loop BB4_9 Depth=1
                                        ; =>  This Inner Loop Header: Depth=2
	global_load_dword v6, v[9:10], off glc
	s_waitcnt vmcnt(0)
	v_cmp_ne_u32_e64 s[6:7], 0, v6
	s_or_b64 s[30:31], s[6:7], s[30:31]
	s_andn2_b64 exec, exec, s[30:31]
	s_cbranch_execnz .LBB4_17
.LBB4_18:                               ;   in Loop: Header=BB4_9 Depth=1
	s_or_b64 exec, exec, s[28:29]
	s_waitcnt lgkmcnt(0)
	buffer_wbinvl1_vol
	s_and_saveexec_b64 s[28:29], s[2:3]
	s_cbranch_execz .LBB4_22
; %bb.19:                               ;   in Loop: Header=BB4_9 Depth=1
	v_mov_b32_e32 v6, 0
	s_and_saveexec_b64 s[30:31], s[0:1]
	s_cbranch_execz .LBB4_21
; %bb.20:                               ;   in Loop: Header=BB4_9 Depth=1
	v_mad_u64_u32 v[9:10], s[6:7], v8, s33, v[4:5]
	v_mov_b32_e32 v6, s13
	v_ashrrev_i32_e32 v10, 31, v9
	v_lshlrev_b64 v[9:10], 2, v[9:10]
	v_add_co_u32_e64 v9, s[6:7], s12, v9
	v_addc_co_u32_e64 v10, s[6:7], v6, v10, s[6:7]
	global_load_dword v6, v[9:10], off
.LBB4_21:                               ;   in Loop: Header=BB4_9 Depth=1
	s_or_b64 exec, exec, s[30:31]
	s_waitcnt vmcnt(0)
	ds_write_b32 v15, v6
.LBB4_22:                               ;   in Loop: Header=BB4_9 Depth=1
	s_or_b64 exec, exec, s[28:29]
	s_waitcnt lgkmcnt(0)
	s_and_saveexec_b64 s[6:7], s[0:1]
	s_cbranch_execz .LBB4_7
; %bb.23:                               ;   in Loop: Header=BB4_9 Depth=1
	ds_read2_b32 v[9:10], v16 offset1:8
	ds_read_b128 v[19:22], v13
	ds_read_b128 v[23:26], v13 offset:16
	ds_read2_b32 v[27:28], v16 offset0:16 offset1:24
	ds_read2_b32 v[29:30], v16 offset0:32 offset1:40
	s_waitcnt lgkmcnt(3)
	v_fma_f32 v6, -v9, v19, v11
	v_fma_f32 v6, -v10, v20, v6
	ds_read2_b32 v[9:10], v16 offset0:48 offset1:56
	s_waitcnt lgkmcnt(2)
	v_fma_f32 v6, -v27, v21, v6
	v_fma_f32 v6, -v28, v22, v6
	s_waitcnt lgkmcnt(1)
	v_fma_f32 v6, -v29, v23, v6
	v_fma_f32 v6, -v30, v24, v6
	;; [unrolled: 3-line block ×3, first 2 shown]
	s_branch .LBB4_7
.LBB4_24:                               ;   in Loop: Header=BB4_9 Depth=1
                                        ; implicit-def: $vgpr8
	s_branch .LBB4_12
.LBB4_25:
	s_or_b64 exec, exec, s[24:25]
.LBB4_26:
	s_or_b64 exec, exec, s[22:23]
	s_cmp_gt_i32 s33, 0
	v_cmp_eq_u32_e32 vcc, v8, v1
	s_cselect_b64 s[2:3], -1, 0
	s_mov_b32 s22, 0
	s_and_b64 s[4:5], s[2:3], vcc
	s_mov_b64 s[2:3], 0
	s_and_saveexec_b64 s[6:7], s[4:5]
	s_cbranch_execnz .LBB4_30
; %bb.27:
	s_or_b64 exec, exec, s[6:7]
	s_and_saveexec_b64 s[4:5], s[0:1]
	s_cbranch_execnz .LBB4_41
.LBB4_28:
	s_or_b64 exec, exec, s[4:5]
	v_cmp_eq_u32_e32 vcc, 0, v4
	s_and_b64 exec, exec, vcc
	s_cbranch_execnz .LBB4_42
.LBB4_29:
	s_endpgm
.LBB4_30:
	s_cmp_eq_u32 s9, 0
	v_mbcnt_lo_u32_b32 v0, -1, 0
	s_cselect_b64 s[2:3], -1, 0
	v_mbcnt_hi_u32_b32 v0, -1, v0
	v_cndmask_b32_e64 v6, 0, 1, s[2:3]
	v_and_b32_e32 v0, 64, v0
	v_lshl_add_u32 v5, v4, 2, v12
	s_mov_b64 s[10:11], 0
	v_cmp_ne_u32_e64 s[2:3], 1, v6
	s_branch .LBB4_33
.LBB4_31:                               ;   in Loop: Header=BB4_33 Depth=1
	s_or_b64 exec, exec, s[18:19]
.LBB4_32:                               ;   in Loop: Header=BB4_33 Depth=1
	s_or_b64 exec, exec, s[16:17]
	s_or_b64 s[10:11], s[4:5], s[10:11]
	s_add_i32 s22, s22, 1
	v_add_u32_e32 v5, 32, v5
	s_cmp_lg_u32 s33, s22
	v_add_u32_e32 v12, 36, v12
	s_cbranch_scc0 .LBB4_40
.LBB4_33:                               ; =>This Inner Loop Header: Depth=1
	s_and_b64 vcc, exec, s[2:3]
	v_mov_b32_e32 v6, 1.0
	s_cbranch_vccnz .LBB4_35
; %bb.34:                               ;   in Loop: Header=BB4_33 Depth=1
	ds_read_b32 v6, v12
.LBB4_35:                               ;   in Loop: Header=BB4_33 Depth=1
	v_and_or_b32 v7, s22, 63, v0
	v_lshlrev_b32_e32 v7, 2, v7
	ds_bpermute_b32 v7, v7, v11
	s_waitcnt lgkmcnt(0)
	v_cmp_eq_f32_e64 s[4:5], 0, v6
	s_and_saveexec_b64 s[16:17], s[0:1]
	s_cbranch_execz .LBB4_32
; %bb.36:                               ;   in Loop: Header=BB4_33 Depth=1
	v_div_scale_f32 v8, s[18:19], v6, v6, v7
	v_div_scale_f32 v9, vcc, v7, v6, v7
	v_rcp_f32_e32 v10, v8
	v_fma_f32 v13, -v8, v10, 1.0
	v_fmac_f32_e32 v10, v13, v10
	v_mul_f32_e32 v13, v9, v10
	v_fma_f32 v14, -v8, v13, v9
	v_fmac_f32_e32 v13, v14, v10
	v_fma_f32 v8, -v8, v13, v9
	v_div_fmas_f32 v8, v8, v10, v13
	v_cmp_ge_u32_e32 vcc, s22, v4
	v_div_fixup_f32 v6, v8, v6, v7
	v_cndmask_b32_e64 v6, v6, v7, s[4:5]
	s_and_saveexec_b64 s[18:19], vcc
	s_xor_b64 s[18:19], exec, s[18:19]
; %bb.37:                               ;   in Loop: Header=BB4_33 Depth=1
	v_cmp_eq_u32_e32 vcc, s22, v4
	v_cndmask_b32_e32 v11, v11, v6, vcc
                                        ; implicit-def: $vgpr6
; %bb.38:                               ;   in Loop: Header=BB4_33 Depth=1
	s_andn2_saveexec_b64 s[18:19], s[18:19]
	s_cbranch_execz .LBB4_31
; %bb.39:                               ;   in Loop: Header=BB4_33 Depth=1
	ds_read_b32 v7, v5
	s_waitcnt lgkmcnt(0)
	v_fma_f32 v11, -v6, v7, v11
	s_branch .LBB4_31
.LBB4_40:
	s_and_b64 s[2:3], s[10:11], exec
	s_or_b64 exec, exec, s[6:7]
	s_and_saveexec_b64 s[4:5], s[0:1]
	s_cbranch_execz .LBB4_28
.LBB4_41:
	v_mad_u64_u32 v[5:6], s[0:1], v1, s33, v[4:5]
	v_mov_b32_e32 v0, s13
	v_ashrrev_i32_e32 v6, 31, v5
	v_lshlrev_b64 v[5:6], 2, v[5:6]
	v_add_co_u32_e32 v5, vcc, s12, v5
	v_addc_co_u32_e32 v6, vcc, v0, v6, vcc
	global_store_dword v[5:6], v11, off
	s_or_b64 exec, exec, s[4:5]
	v_cmp_eq_u32_e32 vcc, 0, v4
	s_and_b64 exec, exec, vcc
	s_cbranch_execz .LBB4_29
.LBB4_42:
	v_mov_b32_e32 v0, s15
	v_add_co_u32_e32 v2, vcc, s14, v2
	v_addc_co_u32_e32 v3, vcc, v0, v3, vcc
	v_mov_b32_e32 v0, 1
	s_waitcnt vmcnt(0) lgkmcnt(0)
	global_store_dword v[2:3], v0, off
	s_and_b64 exec, exec, s[2:3]
	s_cbranch_execz .LBB4_29
; %bb.43:
	s_mov_b64 s[0:1], exec
	v_add_u32_e32 v0, s8, v1
	s_brev_b32 s2, -2
.LBB4_44:                               ; =>This Inner Loop Header: Depth=1
	s_ff1_i32_b64 s3, s[0:1]
	v_readlane_b32 s6, v0, s3
	s_lshl_b64 s[4:5], 1, s3
	s_min_i32 s2, s2, s6
	s_andn2_b64 s[0:1], s[0:1], s[4:5]
	s_cmp_lg_u64 s[0:1], 0
	s_cbranch_scc1 .LBB4_44
; %bb.45:
	v_mbcnt_lo_u32_b32 v0, exec_lo, 0
	v_mbcnt_hi_u32_b32 v0, exec_hi, v0
	v_cmp_eq_u32_e32 vcc, 0, v0
	s_and_saveexec_b64 s[0:1], vcc
	s_xor_b64 s[0:1], exec, s[0:1]
	s_cbranch_execz .LBB4_29
; %bb.46:
	v_mov_b32_e32 v0, 0
	v_mov_b32_e32 v1, s2
	global_atomic_smin v0, v1, s[20:21]
	s_endpgm
	.section	.rodata,"a",@progbits
	.p2align	6, 0x0
	.amdhsa_kernel _ZN9rocsparseL18bsrsv_lower_sharedILj128ELj64ELi8ELb0EfEEviNS_24const_host_device_scalarIT3_EEPKiS5_PKS2_iS7_PS2_PiS9_S9_21rocsparse_index_base_20rocsparse_diag_type_20rocsparse_direction_b
		.amdhsa_group_segment_fixed_size 576
		.amdhsa_private_segment_fixed_size 0
		.amdhsa_kernarg_size 104
		.amdhsa_user_sgpr_count 6
		.amdhsa_user_sgpr_private_segment_buffer 1
		.amdhsa_user_sgpr_dispatch_ptr 0
		.amdhsa_user_sgpr_queue_ptr 0
		.amdhsa_user_sgpr_kernarg_segment_ptr 1
		.amdhsa_user_sgpr_dispatch_id 0
		.amdhsa_user_sgpr_flat_scratch_init 0
		.amdhsa_user_sgpr_private_segment_size 0
		.amdhsa_uses_dynamic_stack 0
		.amdhsa_system_sgpr_private_segment_wavefront_offset 0
		.amdhsa_system_sgpr_workgroup_id_x 1
		.amdhsa_system_sgpr_workgroup_id_y 0
		.amdhsa_system_sgpr_workgroup_id_z 0
		.amdhsa_system_sgpr_workgroup_info 0
		.amdhsa_system_vgpr_workitem_id 0
		.amdhsa_next_free_vgpr 31
		.amdhsa_next_free_sgpr 34
		.amdhsa_reserve_vcc 1
		.amdhsa_reserve_flat_scratch 0
		.amdhsa_float_round_mode_32 0
		.amdhsa_float_round_mode_16_64 0
		.amdhsa_float_denorm_mode_32 3
		.amdhsa_float_denorm_mode_16_64 3
		.amdhsa_dx10_clamp 1
		.amdhsa_ieee_mode 1
		.amdhsa_fp16_overflow 0
		.amdhsa_exception_fp_ieee_invalid_op 0
		.amdhsa_exception_fp_denorm_src 0
		.amdhsa_exception_fp_ieee_div_zero 0
		.amdhsa_exception_fp_ieee_overflow 0
		.amdhsa_exception_fp_ieee_underflow 0
		.amdhsa_exception_fp_ieee_inexact 0
		.amdhsa_exception_int_div_zero 0
	.end_amdhsa_kernel
	.section	.text._ZN9rocsparseL18bsrsv_lower_sharedILj128ELj64ELi8ELb0EfEEviNS_24const_host_device_scalarIT3_EEPKiS5_PKS2_iS7_PS2_PiS9_S9_21rocsparse_index_base_20rocsparse_diag_type_20rocsparse_direction_b,"axG",@progbits,_ZN9rocsparseL18bsrsv_lower_sharedILj128ELj64ELi8ELb0EfEEviNS_24const_host_device_scalarIT3_EEPKiS5_PKS2_iS7_PS2_PiS9_S9_21rocsparse_index_base_20rocsparse_diag_type_20rocsparse_direction_b,comdat
.Lfunc_end4:
	.size	_ZN9rocsparseL18bsrsv_lower_sharedILj128ELj64ELi8ELb0EfEEviNS_24const_host_device_scalarIT3_EEPKiS5_PKS2_iS7_PS2_PiS9_S9_21rocsparse_index_base_20rocsparse_diag_type_20rocsparse_direction_b, .Lfunc_end4-_ZN9rocsparseL18bsrsv_lower_sharedILj128ELj64ELi8ELb0EfEEviNS_24const_host_device_scalarIT3_EEPKiS5_PKS2_iS7_PS2_PiS9_S9_21rocsparse_index_base_20rocsparse_diag_type_20rocsparse_direction_b
                                        ; -- End function
	.set _ZN9rocsparseL18bsrsv_lower_sharedILj128ELj64ELi8ELb0EfEEviNS_24const_host_device_scalarIT3_EEPKiS5_PKS2_iS7_PS2_PiS9_S9_21rocsparse_index_base_20rocsparse_diag_type_20rocsparse_direction_b.num_vgpr, 31
	.set _ZN9rocsparseL18bsrsv_lower_sharedILj128ELj64ELi8ELb0EfEEviNS_24const_host_device_scalarIT3_EEPKiS5_PKS2_iS7_PS2_PiS9_S9_21rocsparse_index_base_20rocsparse_diag_type_20rocsparse_direction_b.num_agpr, 0
	.set _ZN9rocsparseL18bsrsv_lower_sharedILj128ELj64ELi8ELb0EfEEviNS_24const_host_device_scalarIT3_EEPKiS5_PKS2_iS7_PS2_PiS9_S9_21rocsparse_index_base_20rocsparse_diag_type_20rocsparse_direction_b.numbered_sgpr, 34
	.set _ZN9rocsparseL18bsrsv_lower_sharedILj128ELj64ELi8ELb0EfEEviNS_24const_host_device_scalarIT3_EEPKiS5_PKS2_iS7_PS2_PiS9_S9_21rocsparse_index_base_20rocsparse_diag_type_20rocsparse_direction_b.num_named_barrier, 0
	.set _ZN9rocsparseL18bsrsv_lower_sharedILj128ELj64ELi8ELb0EfEEviNS_24const_host_device_scalarIT3_EEPKiS5_PKS2_iS7_PS2_PiS9_S9_21rocsparse_index_base_20rocsparse_diag_type_20rocsparse_direction_b.private_seg_size, 0
	.set _ZN9rocsparseL18bsrsv_lower_sharedILj128ELj64ELi8ELb0EfEEviNS_24const_host_device_scalarIT3_EEPKiS5_PKS2_iS7_PS2_PiS9_S9_21rocsparse_index_base_20rocsparse_diag_type_20rocsparse_direction_b.uses_vcc, 1
	.set _ZN9rocsparseL18bsrsv_lower_sharedILj128ELj64ELi8ELb0EfEEviNS_24const_host_device_scalarIT3_EEPKiS5_PKS2_iS7_PS2_PiS9_S9_21rocsparse_index_base_20rocsparse_diag_type_20rocsparse_direction_b.uses_flat_scratch, 0
	.set _ZN9rocsparseL18bsrsv_lower_sharedILj128ELj64ELi8ELb0EfEEviNS_24const_host_device_scalarIT3_EEPKiS5_PKS2_iS7_PS2_PiS9_S9_21rocsparse_index_base_20rocsparse_diag_type_20rocsparse_direction_b.has_dyn_sized_stack, 0
	.set _ZN9rocsparseL18bsrsv_lower_sharedILj128ELj64ELi8ELb0EfEEviNS_24const_host_device_scalarIT3_EEPKiS5_PKS2_iS7_PS2_PiS9_S9_21rocsparse_index_base_20rocsparse_diag_type_20rocsparse_direction_b.has_recursion, 0
	.set _ZN9rocsparseL18bsrsv_lower_sharedILj128ELj64ELi8ELb0EfEEviNS_24const_host_device_scalarIT3_EEPKiS5_PKS2_iS7_PS2_PiS9_S9_21rocsparse_index_base_20rocsparse_diag_type_20rocsparse_direction_b.has_indirect_call, 0
	.section	.AMDGPU.csdata,"",@progbits
; Kernel info:
; codeLenInByte = 1516
; TotalNumSgprs: 38
; NumVgprs: 31
; ScratchSize: 0
; MemoryBound: 0
; FloatMode: 240
; IeeeMode: 1
; LDSByteSize: 576 bytes/workgroup (compile time only)
; SGPRBlocks: 4
; VGPRBlocks: 7
; NumSGPRsForWavesPerEU: 38
; NumVGPRsForWavesPerEU: 31
; Occupancy: 8
; WaveLimiterHint : 1
; COMPUTE_PGM_RSRC2:SCRATCH_EN: 0
; COMPUTE_PGM_RSRC2:USER_SGPR: 6
; COMPUTE_PGM_RSRC2:TRAP_HANDLER: 0
; COMPUTE_PGM_RSRC2:TGID_X_EN: 1
; COMPUTE_PGM_RSRC2:TGID_Y_EN: 0
; COMPUTE_PGM_RSRC2:TGID_Z_EN: 0
; COMPUTE_PGM_RSRC2:TIDIG_COMP_CNT: 0
	.section	.text._ZN9rocsparseL18bsrsv_upper_sharedILj128ELj64ELi8ELb1EfEEviNS_24const_host_device_scalarIT3_EEPKiS5_PKS2_iS7_PS2_PiS9_S9_21rocsparse_index_base_20rocsparse_diag_type_20rocsparse_direction_b,"axG",@progbits,_ZN9rocsparseL18bsrsv_upper_sharedILj128ELj64ELi8ELb1EfEEviNS_24const_host_device_scalarIT3_EEPKiS5_PKS2_iS7_PS2_PiS9_S9_21rocsparse_index_base_20rocsparse_diag_type_20rocsparse_direction_b,comdat
	.globl	_ZN9rocsparseL18bsrsv_upper_sharedILj128ELj64ELi8ELb1EfEEviNS_24const_host_device_scalarIT3_EEPKiS5_PKS2_iS7_PS2_PiS9_S9_21rocsparse_index_base_20rocsparse_diag_type_20rocsparse_direction_b ; -- Begin function _ZN9rocsparseL18bsrsv_upper_sharedILj128ELj64ELi8ELb1EfEEviNS_24const_host_device_scalarIT3_EEPKiS5_PKS2_iS7_PS2_PiS9_S9_21rocsparse_index_base_20rocsparse_diag_type_20rocsparse_direction_b
	.p2align	8
	.type	_ZN9rocsparseL18bsrsv_upper_sharedILj128ELj64ELi8ELb1EfEEviNS_24const_host_device_scalarIT3_EEPKiS5_PKS2_iS7_PS2_PiS9_S9_21rocsparse_index_base_20rocsparse_diag_type_20rocsparse_direction_b,@function
_ZN9rocsparseL18bsrsv_upper_sharedILj128ELj64ELi8ELb1EfEEviNS_24const_host_device_scalarIT3_EEPKiS5_PKS2_iS7_PS2_PiS9_S9_21rocsparse_index_base_20rocsparse_diag_type_20rocsparse_direction_b: ; @_ZN9rocsparseL18bsrsv_upper_sharedILj128ELj64ELi8ELb1EfEEviNS_24const_host_device_scalarIT3_EEPKiS5_PKS2_iS7_PS2_PiS9_S9_21rocsparse_index_base_20rocsparse_diag_type_20rocsparse_direction_b
; %bb.0:
	s_load_dwordx4 s[8:11], s[4:5], 0x58
	s_load_dwordx2 s[2:3], s[4:5], 0x8
	s_waitcnt lgkmcnt(0)
	s_bitcmp1_b32 s11, 0
	s_cselect_b64 s[0:1], -1, 0
	s_and_b64 vcc, exec, s[0:1]
	s_cbranch_vccnz .LBB5_2
; %bb.1:
	s_load_dword s2, s[2:3], 0x0
.LBB5_2:
	s_nop 0
	s_load_dword s3, s[4:5], 0x0
	s_lshl_b32 s0, s6, 1
	v_lshrrev_b32_e32 v12, 6, v0
	s_and_b32 s0, s0, 0x3fffffe
	v_or_b32_e32 v1, s0, v12
	s_waitcnt lgkmcnt(0)
	v_cmp_gt_i32_e32 vcc, s3, v1
	s_and_saveexec_b64 s[0:1], vcc
	s_cbranch_execz .LBB5_31
; %bb.3:
	s_load_dwordx2 s[0:1], s[4:5], 0x48
	s_load_dwordx4 s[12:15], s[4:5], 0x38
	v_lshlrev_b32_e32 v1, 2, v1
	v_mov_b32_e32 v7, 0
	s_waitcnt lgkmcnt(0)
	global_load_dword v1, v1, s[0:1]
	s_load_dwordx2 s[0:1], s[4:5], 0x10
	s_load_dword s33, s[4:5], 0x28
	s_waitcnt lgkmcnt(0)
	v_mov_b32_e32 v5, s1
	s_waitcnt vmcnt(0)
	v_ashrrev_i32_e32 v2, 31, v1
	v_lshlrev_b64 v[2:3], 2, v[1:2]
	v_add_co_u32_e32 v4, vcc, s0, v2
	v_addc_co_u32_e32 v5, vcc, v5, v3, vcc
	global_load_dwordx2 v[5:6], v[4:5], off
	v_and_b32_e32 v4, 63, v0
	v_cmp_gt_i32_e64 s[0:1], s33, v4
	s_and_saveexec_b64 s[6:7], s[0:1]
	s_cbranch_execz .LBB5_5
; %bb.4:
	s_waitcnt vmcnt(0)
	v_mad_u64_u32 v[7:8], s[16:17], v1, s33, v[4:5]
	s_load_dwordx2 s[16:17], s[4:5], 0x30
	v_ashrrev_i32_e32 v8, 31, v7
	v_lshlrev_b64 v[7:8], 2, v[7:8]
	s_waitcnt lgkmcnt(0)
	v_mov_b32_e32 v9, s17
	v_add_co_u32_e32 v7, vcc, s16, v7
	v_addc_co_u32_e32 v8, vcc, v9, v8, vcc
	global_load_dword v7, v[7:8], off
.LBB5_5:
	s_or_b64 exec, exec, s[6:7]
	s_load_dwordx2 s[20:21], s[4:5], 0x50
	s_waitcnt vmcnt(0)
	v_subrev_u32_e32 v14, s8, v5
	v_xad_u32 v5, s8, -1, v6
	v_mul_f32_e32 v11, s2, v7
	v_cmp_ge_i32_e32 vcc, v5, v14
	v_mov_b32_e32 v8, s3
	v_lshlrev_b32_e32 v13, 2, v4
	s_and_saveexec_b64 s[22:23], vcc
	s_cbranch_execz .LBB5_28
; %bb.6:
	s_load_dwordx4 s[16:19], s[4:5], 0x18
	v_and_b32_e32 v6, 64, v0
	v_mov_b32_e32 v7, 0x200
	v_lshlrev_b32_e32 v6, 2, v6
	v_lshl_or_b32 v15, v12, 5, v7
	v_and_b32_e32 v0, 7, v0
	v_lshrrev_b32_e32 v7, 3, v4
	v_lshl_or_b32 v8, v0, 2, v6
	v_or_b32_e32 v17, v6, v13
	v_max_i32_e32 v6, v0, v7
	s_cmp_lg_u32 s10, 0
	v_cmp_gt_i32_e64 s[4:5], s33, v6
	v_lshlrev_b32_e32 v6, 5, v7
	s_cselect_b64 s[10:11], -1, 0
	v_cmp_gt_u32_e64 s[2:3], 8, v4
	v_add_u32_e32 v16, v15, v13
	s_mov_b64 s[24:25], 0
	s_waitcnt lgkmcnt(0)
	v_mov_b32_e32 v18, s17
	v_add_u32_e32 v19, v8, v6
	s_branch .LBB5_9
.LBB5_7:                                ;   in Loop: Header=BB5_9 Depth=1
	s_or_b64 exec, exec, s[6:7]
.LBB5_8:                                ;   in Loop: Header=BB5_9 Depth=1
	s_or_b64 exec, exec, s[26:27]
	v_cmp_le_i32_e64 s[6:7], v5, v14
	s_xor_b64 s[26:27], vcc, -1
	s_or_b64 s[6:7], s[26:27], s[6:7]
	v_add_u32_e32 v6, -1, v5
	s_and_b64 s[6:7], exec, s[6:7]
	s_or_b64 s[24:25], s[6:7], s[24:25]
	v_mov_b32_e32 v5, v6
	s_andn2_b64 exec, exec, s[24:25]
	s_cbranch_execz .LBB5_27
.LBB5_9:                                ; =>This Loop Header: Depth=1
                                        ;     Child Loop BB5_18 Depth 2
                                        ;       Child Loop BB5_19 Depth 3
	v_ashrrev_i32_e32 v6, 31, v5
	v_lshlrev_b64 v[8:9], 2, v[5:6]
	v_add_co_u32_e32 v8, vcc, s16, v8
	v_addc_co_u32_e32 v9, vcc, v18, v9, vcc
	global_load_dword v6, v[8:9], off
	v_mov_b32_e32 v9, 0
	s_and_saveexec_b64 s[6:7], s[4:5]
	s_cbranch_execz .LBB5_14
; %bb.10:                               ;   in Loop: Header=BB5_9 Depth=1
	v_mul_lo_u32 v10, v5, s33
	s_and_b64 vcc, exec, s[10:11]
	s_cbranch_vccz .LBB5_26
; %bb.11:                               ;   in Loop: Header=BB5_9 Depth=1
	v_add_u32_e32 v8, v10, v7
	v_mad_u64_u32 v[8:9], s[26:27], v8, s33, v[0:1]
	s_cbranch_execnz .LBB5_13
.LBB5_12:                               ;   in Loop: Header=BB5_9 Depth=1
	v_add_u32_e32 v8, v10, v0
	v_mad_u64_u32 v[8:9], s[26:27], v8, s33, v[7:8]
.LBB5_13:                               ;   in Loop: Header=BB5_9 Depth=1
	v_ashrrev_i32_e32 v9, 31, v8
	v_lshlrev_b64 v[8:9], 2, v[8:9]
	v_mov_b32_e32 v10, s19
	v_add_co_u32_e32 v8, vcc, s18, v8
	v_addc_co_u32_e32 v9, vcc, v10, v9, vcc
	global_load_dword v9, v[8:9], off
.LBB5_14:                               ;   in Loop: Header=BB5_9 Depth=1
	s_or_b64 exec, exec, s[6:7]
	s_waitcnt vmcnt(0)
	v_subrev_u32_e32 v8, s8, v6
	v_cmp_gt_i32_e32 vcc, v8, v1
	ds_write_b32 v19, v9
	s_and_saveexec_b64 s[26:27], vcc
	s_cbranch_execz .LBB5_8
; %bb.15:                               ;   in Loop: Header=BB5_9 Depth=1
	v_ashrrev_i32_e32 v9, 31, v8
	v_lshlrev_b64 v[9:10], 2, v[8:9]
	v_mov_b32_e32 v6, s15
	v_add_co_u32_e64 v9, s[6:7], s14, v9
	v_addc_co_u32_e64 v10, s[6:7], v6, v10, s[6:7]
	global_load_dword v6, v[9:10], off glc
	s_waitcnt vmcnt(0)
	v_cmp_eq_u32_e64 s[6:7], 0, v6
	s_and_saveexec_b64 s[28:29], s[6:7]
	s_cbranch_execz .LBB5_20
; %bb.16:                               ;   in Loop: Header=BB5_9 Depth=1
	s_mov_b32 s17, 0
	s_mov_b64 s[30:31], 0
	s_branch .LBB5_18
.LBB5_17:                               ;   in Loop: Header=BB5_18 Depth=2
	global_load_dword v6, v[9:10], off glc
	s_cmpk_lt_u32 s17, 0xf43
	s_cselect_b64 s[6:7], -1, 0
	s_cmp_lg_u64 s[6:7], 0
	s_addc_u32 s17, s17, 0
	s_waitcnt vmcnt(0)
	v_cmp_ne_u32_e64 s[6:7], 0, v6
	s_or_b64 s[30:31], s[6:7], s[30:31]
	s_andn2_b64 exec, exec, s[30:31]
	s_cbranch_execz .LBB5_20
.LBB5_18:                               ;   Parent Loop BB5_9 Depth=1
                                        ; =>  This Loop Header: Depth=2
                                        ;       Child Loop BB5_19 Depth 3
	s_cmp_eq_u32 s17, 0
	s_mov_b32 s6, s17
	s_cbranch_scc1 .LBB5_17
.LBB5_19:                               ;   Parent Loop BB5_9 Depth=1
                                        ;     Parent Loop BB5_18 Depth=2
                                        ; =>    This Inner Loop Header: Depth=3
	s_add_i32 s6, s6, -1
	s_cmp_eq_u32 s6, 0
	s_sleep 1
	s_cbranch_scc0 .LBB5_19
	s_branch .LBB5_17
.LBB5_20:                               ;   in Loop: Header=BB5_9 Depth=1
	s_or_b64 exec, exec, s[28:29]
	s_waitcnt lgkmcnt(0)
	buffer_wbinvl1_vol
	s_and_saveexec_b64 s[28:29], s[2:3]
	s_cbranch_execz .LBB5_24
; %bb.21:                               ;   in Loop: Header=BB5_9 Depth=1
	v_mov_b32_e32 v6, 0
	s_and_saveexec_b64 s[30:31], s[0:1]
	s_cbranch_execz .LBB5_23
; %bb.22:                               ;   in Loop: Header=BB5_9 Depth=1
	v_mad_u64_u32 v[9:10], s[6:7], v8, s33, v[4:5]
	v_mov_b32_e32 v6, s13
	v_ashrrev_i32_e32 v10, 31, v9
	v_lshlrev_b64 v[9:10], 2, v[9:10]
	v_add_co_u32_e64 v9, s[6:7], s12, v9
	v_addc_co_u32_e64 v10, s[6:7], v6, v10, s[6:7]
	global_load_dword v6, v[9:10], off
.LBB5_23:                               ;   in Loop: Header=BB5_9 Depth=1
	s_or_b64 exec, exec, s[30:31]
	s_waitcnt vmcnt(0)
	ds_write_b32 v16, v6
.LBB5_24:                               ;   in Loop: Header=BB5_9 Depth=1
	s_or_b64 exec, exec, s[28:29]
	s_waitcnt lgkmcnt(0)
	s_and_saveexec_b64 s[6:7], s[0:1]
	s_cbranch_execz .LBB5_7
; %bb.25:                               ;   in Loop: Header=BB5_9 Depth=1
	ds_read2_b32 v[9:10], v17 offset1:8
	ds_read_b128 v[20:23], v15
	ds_read_b128 v[24:27], v15 offset:16
	ds_read2_b32 v[28:29], v17 offset0:16 offset1:24
	ds_read2_b32 v[30:31], v17 offset0:32 offset1:40
	s_waitcnt lgkmcnt(3)
	v_fma_f32 v6, -v9, v20, v11
	v_fma_f32 v6, -v10, v21, v6
	ds_read2_b32 v[9:10], v17 offset0:48 offset1:56
	s_waitcnt lgkmcnt(2)
	v_fma_f32 v6, -v28, v22, v6
	v_fma_f32 v6, -v29, v23, v6
	s_waitcnt lgkmcnt(1)
	v_fma_f32 v6, -v30, v24, v6
	v_fma_f32 v6, -v31, v25, v6
	;; [unrolled: 3-line block ×3, first 2 shown]
	s_branch .LBB5_7
.LBB5_26:                               ;   in Loop: Header=BB5_9 Depth=1
                                        ; implicit-def: $vgpr8
	s_branch .LBB5_12
.LBB5_27:
	s_or_b64 exec, exec, s[24:25]
.LBB5_28:
	s_or_b64 exec, exec, s[22:23]
	s_cmp_gt_i32 s33, 0
	v_cmp_eq_u32_e32 vcc, v8, v1
	s_cselect_b64 s[2:3], -1, 0
	s_and_b64 s[4:5], s[2:3], vcc
	s_mov_b64 s[2:3], 0
	s_and_saveexec_b64 s[6:7], s[4:5]
	s_cbranch_execnz .LBB5_32
; %bb.29:
	s_or_b64 exec, exec, s[6:7]
	s_and_saveexec_b64 s[4:5], s[0:1]
	s_cbranch_execnz .LBB5_43
.LBB5_30:
	s_or_b64 exec, exec, s[4:5]
	v_cmp_eq_u32_e32 vcc, 0, v4
	s_and_b64 exec, exec, vcc
	s_cbranch_execnz .LBB5_44
.LBB5_31:
	s_endpgm
.LBB5_32:
	v_lshlrev_b32_e32 v5, 8, v12
	v_mad_u64_u32 v[6:7], s[4:5], s33, 36, v[5:6]
	s_cmp_eq_u32 s9, 0
	s_cselect_b64 s[2:3], -1, 0
	v_mbcnt_lo_u32_b32 v0, -1, 0
	v_mbcnt_hi_u32_b32 v0, -1, v0
	v_lshl_add_u32 v5, s33, 5, v5
	s_movk_i32 s4, 0xffe0
	v_cndmask_b32_e64 v7, 0, 1, s[2:3]
	v_and_b32_e32 v0, 64, v0
	s_add_i32 s9, s33, -1
	v_add3_u32 v5, v5, v13, s4
	v_subrev_u32_e32 v6, 36, v6
	s_mov_b64 s[10:11], 0
	v_cmp_ne_u32_e64 s[2:3], 1, v7
	s_and_b64 vcc, exec, s[2:3]
	v_mov_b32_e32 v7, 1.0
	s_cbranch_vccnz .LBB5_34
.LBB5_33:
	ds_read_b32 v7, v6
.LBB5_34:                               ; =>This Inner Loop Header: Depth=1
	v_and_or_b32 v8, s9, 63, v0
	v_lshlrev_b32_e32 v8, 2, v8
	ds_bpermute_b32 v8, v8, v11
	s_waitcnt lgkmcnt(0)
	v_cmp_eq_f32_e64 s[4:5], 0, v7
	s_and_saveexec_b64 s[16:17], s[0:1]
	s_cbranch_execz .LBB5_40
; %bb.35:                               ;   in Loop: Header=BB5_34 Depth=1
	v_div_scale_f32 v9, s[18:19], v7, v7, v8
	v_div_scale_f32 v10, vcc, v8, v7, v8
	v_rcp_f32_e32 v12, v9
	v_fma_f32 v13, -v9, v12, 1.0
	v_fmac_f32_e32 v12, v13, v12
	v_mul_f32_e32 v13, v10, v12
	v_fma_f32 v14, -v9, v13, v10
	v_fmac_f32_e32 v13, v14, v12
	v_fma_f32 v9, -v9, v13, v10
	v_div_fmas_f32 v9, v9, v12, v13
	v_cmp_le_i32_e32 vcc, s9, v4
	v_div_fixup_f32 v7, v9, v7, v8
	v_cndmask_b32_e64 v7, v7, v8, s[4:5]
	s_and_saveexec_b64 s[18:19], vcc
	s_xor_b64 s[18:19], exec, s[18:19]
; %bb.36:                               ;   in Loop: Header=BB5_34 Depth=1
	v_cmp_eq_u32_e32 vcc, s9, v4
	v_cndmask_b32_e32 v11, v11, v7, vcc
                                        ; implicit-def: $vgpr7
; %bb.37:                               ;   in Loop: Header=BB5_34 Depth=1
	s_andn2_saveexec_b64 s[18:19], s[18:19]
	s_cbranch_execz .LBB5_39
; %bb.38:                               ;   in Loop: Header=BB5_34 Depth=1
	ds_read_b32 v8, v5
	s_waitcnt lgkmcnt(0)
	v_fma_f32 v11, -v7, v8, v11
.LBB5_39:                               ;   in Loop: Header=BB5_34 Depth=1
	s_or_b64 exec, exec, s[18:19]
.LBB5_40:                               ;   in Loop: Header=BB5_34 Depth=1
	s_or_b64 exec, exec, s[16:17]
	s_or_b64 s[10:11], s[4:5], s[10:11]
	s_add_i32 s4, s9, -1
	s_add_i32 s5, s9, 1
	v_subrev_u32_e32 v5, 32, v5
	s_cmp_gt_u32 s5, 1
	v_subrev_u32_e32 v6, 36, v6
	s_cbranch_scc0 .LBB5_42
; %bb.41:                               ;   in Loop: Header=BB5_34 Depth=1
	s_mov_b32 s9, s4
	s_and_b64 vcc, exec, s[2:3]
	v_mov_b32_e32 v7, 1.0
	s_cbranch_vccnz .LBB5_34
	s_branch .LBB5_33
.LBB5_42:
	s_and_b64 s[2:3], s[10:11], exec
	s_or_b64 exec, exec, s[6:7]
	s_and_saveexec_b64 s[4:5], s[0:1]
	s_cbranch_execz .LBB5_30
.LBB5_43:
	v_mad_u64_u32 v[5:6], s[0:1], v1, s33, v[4:5]
	v_mov_b32_e32 v0, s13
	v_ashrrev_i32_e32 v6, 31, v5
	v_lshlrev_b64 v[5:6], 2, v[5:6]
	v_add_co_u32_e32 v5, vcc, s12, v5
	v_addc_co_u32_e32 v6, vcc, v0, v6, vcc
	global_store_dword v[5:6], v11, off
	s_or_b64 exec, exec, s[4:5]
	v_cmp_eq_u32_e32 vcc, 0, v4
	s_and_b64 exec, exec, vcc
	s_cbranch_execz .LBB5_31
.LBB5_44:
	v_mov_b32_e32 v0, s15
	v_add_co_u32_e32 v2, vcc, s14, v2
	v_addc_co_u32_e32 v3, vcc, v0, v3, vcc
	v_mov_b32_e32 v0, 1
	s_waitcnt vmcnt(0) lgkmcnt(0)
	global_store_dword v[2:3], v0, off
	s_and_b64 exec, exec, s[2:3]
	s_cbranch_execz .LBB5_31
; %bb.45:
	s_mov_b64 s[0:1], exec
	v_add_u32_e32 v0, s8, v1
	s_brev_b32 s2, -2
.LBB5_46:                               ; =>This Inner Loop Header: Depth=1
	s_ff1_i32_b64 s3, s[0:1]
	v_readlane_b32 s6, v0, s3
	s_lshl_b64 s[4:5], 1, s3
	s_min_i32 s2, s2, s6
	s_andn2_b64 s[0:1], s[0:1], s[4:5]
	s_cmp_lg_u64 s[0:1], 0
	s_cbranch_scc1 .LBB5_46
; %bb.47:
	v_mbcnt_lo_u32_b32 v0, exec_lo, 0
	v_mbcnt_hi_u32_b32 v0, exec_hi, v0
	v_cmp_eq_u32_e32 vcc, 0, v0
	s_and_saveexec_b64 s[0:1], vcc
	s_xor_b64 s[0:1], exec, s[0:1]
	s_cbranch_execz .LBB5_31
; %bb.48:
	v_mov_b32_e32 v0, 0
	v_mov_b32_e32 v1, s2
	global_atomic_smin v0, v1, s[20:21]
	s_endpgm
	.section	.rodata,"a",@progbits
	.p2align	6, 0x0
	.amdhsa_kernel _ZN9rocsparseL18bsrsv_upper_sharedILj128ELj64ELi8ELb1EfEEviNS_24const_host_device_scalarIT3_EEPKiS5_PKS2_iS7_PS2_PiS9_S9_21rocsparse_index_base_20rocsparse_diag_type_20rocsparse_direction_b
		.amdhsa_group_segment_fixed_size 576
		.amdhsa_private_segment_fixed_size 0
		.amdhsa_kernarg_size 104
		.amdhsa_user_sgpr_count 6
		.amdhsa_user_sgpr_private_segment_buffer 1
		.amdhsa_user_sgpr_dispatch_ptr 0
		.amdhsa_user_sgpr_queue_ptr 0
		.amdhsa_user_sgpr_kernarg_segment_ptr 1
		.amdhsa_user_sgpr_dispatch_id 0
		.amdhsa_user_sgpr_flat_scratch_init 0
		.amdhsa_user_sgpr_private_segment_size 0
		.amdhsa_uses_dynamic_stack 0
		.amdhsa_system_sgpr_private_segment_wavefront_offset 0
		.amdhsa_system_sgpr_workgroup_id_x 1
		.amdhsa_system_sgpr_workgroup_id_y 0
		.amdhsa_system_sgpr_workgroup_id_z 0
		.amdhsa_system_sgpr_workgroup_info 0
		.amdhsa_system_vgpr_workitem_id 0
		.amdhsa_next_free_vgpr 32
		.amdhsa_next_free_sgpr 34
		.amdhsa_reserve_vcc 1
		.amdhsa_reserve_flat_scratch 0
		.amdhsa_float_round_mode_32 0
		.amdhsa_float_round_mode_16_64 0
		.amdhsa_float_denorm_mode_32 3
		.amdhsa_float_denorm_mode_16_64 3
		.amdhsa_dx10_clamp 1
		.amdhsa_ieee_mode 1
		.amdhsa_fp16_overflow 0
		.amdhsa_exception_fp_ieee_invalid_op 0
		.amdhsa_exception_fp_denorm_src 0
		.amdhsa_exception_fp_ieee_div_zero 0
		.amdhsa_exception_fp_ieee_overflow 0
		.amdhsa_exception_fp_ieee_underflow 0
		.amdhsa_exception_fp_ieee_inexact 0
		.amdhsa_exception_int_div_zero 0
	.end_amdhsa_kernel
	.section	.text._ZN9rocsparseL18bsrsv_upper_sharedILj128ELj64ELi8ELb1EfEEviNS_24const_host_device_scalarIT3_EEPKiS5_PKS2_iS7_PS2_PiS9_S9_21rocsparse_index_base_20rocsparse_diag_type_20rocsparse_direction_b,"axG",@progbits,_ZN9rocsparseL18bsrsv_upper_sharedILj128ELj64ELi8ELb1EfEEviNS_24const_host_device_scalarIT3_EEPKiS5_PKS2_iS7_PS2_PiS9_S9_21rocsparse_index_base_20rocsparse_diag_type_20rocsparse_direction_b,comdat
.Lfunc_end5:
	.size	_ZN9rocsparseL18bsrsv_upper_sharedILj128ELj64ELi8ELb1EfEEviNS_24const_host_device_scalarIT3_EEPKiS5_PKS2_iS7_PS2_PiS9_S9_21rocsparse_index_base_20rocsparse_diag_type_20rocsparse_direction_b, .Lfunc_end5-_ZN9rocsparseL18bsrsv_upper_sharedILj128ELj64ELi8ELb1EfEEviNS_24const_host_device_scalarIT3_EEPKiS5_PKS2_iS7_PS2_PiS9_S9_21rocsparse_index_base_20rocsparse_diag_type_20rocsparse_direction_b
                                        ; -- End function
	.set _ZN9rocsparseL18bsrsv_upper_sharedILj128ELj64ELi8ELb1EfEEviNS_24const_host_device_scalarIT3_EEPKiS5_PKS2_iS7_PS2_PiS9_S9_21rocsparse_index_base_20rocsparse_diag_type_20rocsparse_direction_b.num_vgpr, 32
	.set _ZN9rocsparseL18bsrsv_upper_sharedILj128ELj64ELi8ELb1EfEEviNS_24const_host_device_scalarIT3_EEPKiS5_PKS2_iS7_PS2_PiS9_S9_21rocsparse_index_base_20rocsparse_diag_type_20rocsparse_direction_b.num_agpr, 0
	.set _ZN9rocsparseL18bsrsv_upper_sharedILj128ELj64ELi8ELb1EfEEviNS_24const_host_device_scalarIT3_EEPKiS5_PKS2_iS7_PS2_PiS9_S9_21rocsparse_index_base_20rocsparse_diag_type_20rocsparse_direction_b.numbered_sgpr, 34
	.set _ZN9rocsparseL18bsrsv_upper_sharedILj128ELj64ELi8ELb1EfEEviNS_24const_host_device_scalarIT3_EEPKiS5_PKS2_iS7_PS2_PiS9_S9_21rocsparse_index_base_20rocsparse_diag_type_20rocsparse_direction_b.num_named_barrier, 0
	.set _ZN9rocsparseL18bsrsv_upper_sharedILj128ELj64ELi8ELb1EfEEviNS_24const_host_device_scalarIT3_EEPKiS5_PKS2_iS7_PS2_PiS9_S9_21rocsparse_index_base_20rocsparse_diag_type_20rocsparse_direction_b.private_seg_size, 0
	.set _ZN9rocsparseL18bsrsv_upper_sharedILj128ELj64ELi8ELb1EfEEviNS_24const_host_device_scalarIT3_EEPKiS5_PKS2_iS7_PS2_PiS9_S9_21rocsparse_index_base_20rocsparse_diag_type_20rocsparse_direction_b.uses_vcc, 1
	.set _ZN9rocsparseL18bsrsv_upper_sharedILj128ELj64ELi8ELb1EfEEviNS_24const_host_device_scalarIT3_EEPKiS5_PKS2_iS7_PS2_PiS9_S9_21rocsparse_index_base_20rocsparse_diag_type_20rocsparse_direction_b.uses_flat_scratch, 0
	.set _ZN9rocsparseL18bsrsv_upper_sharedILj128ELj64ELi8ELb1EfEEviNS_24const_host_device_scalarIT3_EEPKiS5_PKS2_iS7_PS2_PiS9_S9_21rocsparse_index_base_20rocsparse_diag_type_20rocsparse_direction_b.has_dyn_sized_stack, 0
	.set _ZN9rocsparseL18bsrsv_upper_sharedILj128ELj64ELi8ELb1EfEEviNS_24const_host_device_scalarIT3_EEPKiS5_PKS2_iS7_PS2_PiS9_S9_21rocsparse_index_base_20rocsparse_diag_type_20rocsparse_direction_b.has_recursion, 0
	.set _ZN9rocsparseL18bsrsv_upper_sharedILj128ELj64ELi8ELb1EfEEviNS_24const_host_device_scalarIT3_EEPKiS5_PKS2_iS7_PS2_PiS9_S9_21rocsparse_index_base_20rocsparse_diag_type_20rocsparse_direction_b.has_indirect_call, 0
	.section	.AMDGPU.csdata,"",@progbits
; Kernel info:
; codeLenInByte = 1624
; TotalNumSgprs: 38
; NumVgprs: 32
; ScratchSize: 0
; MemoryBound: 0
; FloatMode: 240
; IeeeMode: 1
; LDSByteSize: 576 bytes/workgroup (compile time only)
; SGPRBlocks: 4
; VGPRBlocks: 7
; NumSGPRsForWavesPerEU: 38
; NumVGPRsForWavesPerEU: 32
; Occupancy: 8
; WaveLimiterHint : 1
; COMPUTE_PGM_RSRC2:SCRATCH_EN: 0
; COMPUTE_PGM_RSRC2:USER_SGPR: 6
; COMPUTE_PGM_RSRC2:TRAP_HANDLER: 0
; COMPUTE_PGM_RSRC2:TGID_X_EN: 1
; COMPUTE_PGM_RSRC2:TGID_Y_EN: 0
; COMPUTE_PGM_RSRC2:TGID_Z_EN: 0
; COMPUTE_PGM_RSRC2:TIDIG_COMP_CNT: 0
	.section	.text._ZN9rocsparseL18bsrsv_upper_sharedILj128ELj64ELi8ELb0EfEEviNS_24const_host_device_scalarIT3_EEPKiS5_PKS2_iS7_PS2_PiS9_S9_21rocsparse_index_base_20rocsparse_diag_type_20rocsparse_direction_b,"axG",@progbits,_ZN9rocsparseL18bsrsv_upper_sharedILj128ELj64ELi8ELb0EfEEviNS_24const_host_device_scalarIT3_EEPKiS5_PKS2_iS7_PS2_PiS9_S9_21rocsparse_index_base_20rocsparse_diag_type_20rocsparse_direction_b,comdat
	.globl	_ZN9rocsparseL18bsrsv_upper_sharedILj128ELj64ELi8ELb0EfEEviNS_24const_host_device_scalarIT3_EEPKiS5_PKS2_iS7_PS2_PiS9_S9_21rocsparse_index_base_20rocsparse_diag_type_20rocsparse_direction_b ; -- Begin function _ZN9rocsparseL18bsrsv_upper_sharedILj128ELj64ELi8ELb0EfEEviNS_24const_host_device_scalarIT3_EEPKiS5_PKS2_iS7_PS2_PiS9_S9_21rocsparse_index_base_20rocsparse_diag_type_20rocsparse_direction_b
	.p2align	8
	.type	_ZN9rocsparseL18bsrsv_upper_sharedILj128ELj64ELi8ELb0EfEEviNS_24const_host_device_scalarIT3_EEPKiS5_PKS2_iS7_PS2_PiS9_S9_21rocsparse_index_base_20rocsparse_diag_type_20rocsparse_direction_b,@function
_ZN9rocsparseL18bsrsv_upper_sharedILj128ELj64ELi8ELb0EfEEviNS_24const_host_device_scalarIT3_EEPKiS5_PKS2_iS7_PS2_PiS9_S9_21rocsparse_index_base_20rocsparse_diag_type_20rocsparse_direction_b: ; @_ZN9rocsparseL18bsrsv_upper_sharedILj128ELj64ELi8ELb0EfEEviNS_24const_host_device_scalarIT3_EEPKiS5_PKS2_iS7_PS2_PiS9_S9_21rocsparse_index_base_20rocsparse_diag_type_20rocsparse_direction_b
; %bb.0:
	s_load_dwordx4 s[8:11], s[4:5], 0x58
	s_load_dwordx2 s[2:3], s[4:5], 0x8
	s_waitcnt lgkmcnt(0)
	s_bitcmp1_b32 s11, 0
	s_cselect_b64 s[0:1], -1, 0
	s_and_b64 vcc, exec, s[0:1]
	s_cbranch_vccnz .LBB6_2
; %bb.1:
	s_load_dword s2, s[2:3], 0x0
.LBB6_2:
	s_nop 0
	s_load_dword s3, s[4:5], 0x0
	s_lshl_b32 s0, s6, 1
	v_lshrrev_b32_e32 v12, 6, v0
	s_and_b32 s0, s0, 0x3fffffe
	v_or_b32_e32 v1, s0, v12
	s_waitcnt lgkmcnt(0)
	v_cmp_gt_i32_e32 vcc, s3, v1
	s_and_saveexec_b64 s[0:1], vcc
	s_cbranch_execz .LBB6_29
; %bb.3:
	s_load_dwordx2 s[0:1], s[4:5], 0x48
	s_load_dwordx4 s[12:15], s[4:5], 0x38
	v_lshlrev_b32_e32 v1, 2, v1
	v_mov_b32_e32 v7, 0
	s_waitcnt lgkmcnt(0)
	global_load_dword v1, v1, s[0:1]
	s_load_dwordx2 s[0:1], s[4:5], 0x10
	s_load_dword s33, s[4:5], 0x28
	s_waitcnt lgkmcnt(0)
	v_mov_b32_e32 v5, s1
	s_waitcnt vmcnt(0)
	v_ashrrev_i32_e32 v2, 31, v1
	v_lshlrev_b64 v[2:3], 2, v[1:2]
	v_add_co_u32_e32 v4, vcc, s0, v2
	v_addc_co_u32_e32 v5, vcc, v5, v3, vcc
	global_load_dwordx2 v[5:6], v[4:5], off
	v_and_b32_e32 v4, 63, v0
	v_cmp_gt_i32_e64 s[0:1], s33, v4
	s_and_saveexec_b64 s[6:7], s[0:1]
	s_cbranch_execz .LBB6_5
; %bb.4:
	s_waitcnt vmcnt(0)
	v_mad_u64_u32 v[7:8], s[16:17], v1, s33, v[4:5]
	s_load_dwordx2 s[16:17], s[4:5], 0x30
	v_ashrrev_i32_e32 v8, 31, v7
	v_lshlrev_b64 v[7:8], 2, v[7:8]
	s_waitcnt lgkmcnt(0)
	v_mov_b32_e32 v9, s17
	v_add_co_u32_e32 v7, vcc, s16, v7
	v_addc_co_u32_e32 v8, vcc, v9, v8, vcc
	global_load_dword v7, v[7:8], off
.LBB6_5:
	s_or_b64 exec, exec, s[6:7]
	s_load_dwordx2 s[20:21], s[4:5], 0x50
	s_waitcnt vmcnt(0)
	v_subrev_u32_e32 v14, s8, v5
	v_xad_u32 v5, s8, -1, v6
	v_mul_f32_e32 v11, s2, v7
	v_cmp_ge_i32_e32 vcc, v5, v14
	v_mov_b32_e32 v8, s3
	v_lshlrev_b32_e32 v13, 2, v4
	s_and_saveexec_b64 s[22:23], vcc
	s_cbranch_execz .LBB6_26
; %bb.6:
	s_load_dwordx4 s[16:19], s[4:5], 0x18
	v_and_b32_e32 v6, 64, v0
	v_mov_b32_e32 v7, 0x200
	v_lshlrev_b32_e32 v6, 2, v6
	v_lshl_or_b32 v15, v12, 5, v7
	v_and_b32_e32 v0, 7, v0
	v_lshrrev_b32_e32 v7, 3, v4
	v_lshl_or_b32 v8, v0, 2, v6
	v_or_b32_e32 v17, v6, v13
	v_max_i32_e32 v6, v0, v7
	s_cmp_lg_u32 s10, 0
	v_cmp_gt_i32_e64 s[4:5], s33, v6
	v_lshlrev_b32_e32 v6, 5, v7
	s_cselect_b64 s[10:11], -1, 0
	v_cmp_gt_u32_e64 s[2:3], 8, v4
	v_add_u32_e32 v16, v15, v13
	s_mov_b64 s[24:25], 0
	s_waitcnt lgkmcnt(0)
	v_mov_b32_e32 v18, s17
	v_add_u32_e32 v19, v8, v6
	s_branch .LBB6_9
.LBB6_7:                                ;   in Loop: Header=BB6_9 Depth=1
	s_or_b64 exec, exec, s[6:7]
.LBB6_8:                                ;   in Loop: Header=BB6_9 Depth=1
	s_or_b64 exec, exec, s[26:27]
	v_cmp_le_i32_e64 s[6:7], v5, v14
	s_xor_b64 s[26:27], vcc, -1
	s_or_b64 s[6:7], s[26:27], s[6:7]
	v_add_u32_e32 v6, -1, v5
	s_and_b64 s[6:7], exec, s[6:7]
	s_or_b64 s[24:25], s[6:7], s[24:25]
	v_mov_b32_e32 v5, v6
	s_andn2_b64 exec, exec, s[24:25]
	s_cbranch_execz .LBB6_25
.LBB6_9:                                ; =>This Loop Header: Depth=1
                                        ;     Child Loop BB6_17 Depth 2
	v_ashrrev_i32_e32 v6, 31, v5
	v_lshlrev_b64 v[8:9], 2, v[5:6]
	v_add_co_u32_e32 v8, vcc, s16, v8
	v_addc_co_u32_e32 v9, vcc, v18, v9, vcc
	global_load_dword v6, v[8:9], off
	v_mov_b32_e32 v9, 0
	s_and_saveexec_b64 s[6:7], s[4:5]
	s_cbranch_execz .LBB6_14
; %bb.10:                               ;   in Loop: Header=BB6_9 Depth=1
	v_mul_lo_u32 v10, v5, s33
	s_and_b64 vcc, exec, s[10:11]
	s_cbranch_vccz .LBB6_24
; %bb.11:                               ;   in Loop: Header=BB6_9 Depth=1
	v_add_u32_e32 v8, v10, v7
	v_mad_u64_u32 v[8:9], s[26:27], v8, s33, v[0:1]
	s_cbranch_execnz .LBB6_13
.LBB6_12:                               ;   in Loop: Header=BB6_9 Depth=1
	v_add_u32_e32 v8, v10, v0
	v_mad_u64_u32 v[8:9], s[26:27], v8, s33, v[7:8]
.LBB6_13:                               ;   in Loop: Header=BB6_9 Depth=1
	v_ashrrev_i32_e32 v9, 31, v8
	v_lshlrev_b64 v[8:9], 2, v[8:9]
	v_mov_b32_e32 v10, s19
	v_add_co_u32_e32 v8, vcc, s18, v8
	v_addc_co_u32_e32 v9, vcc, v10, v9, vcc
	global_load_dword v9, v[8:9], off
.LBB6_14:                               ;   in Loop: Header=BB6_9 Depth=1
	s_or_b64 exec, exec, s[6:7]
	s_waitcnt vmcnt(0)
	v_subrev_u32_e32 v8, s8, v6
	v_cmp_gt_i32_e32 vcc, v8, v1
	ds_write_b32 v19, v9
	s_and_saveexec_b64 s[26:27], vcc
	s_cbranch_execz .LBB6_8
; %bb.15:                               ;   in Loop: Header=BB6_9 Depth=1
	v_ashrrev_i32_e32 v9, 31, v8
	v_lshlrev_b64 v[9:10], 2, v[8:9]
	v_mov_b32_e32 v6, s15
	v_add_co_u32_e64 v9, s[6:7], s14, v9
	v_addc_co_u32_e64 v10, s[6:7], v6, v10, s[6:7]
	global_load_dword v6, v[9:10], off glc
	s_waitcnt vmcnt(0)
	v_cmp_eq_u32_e64 s[6:7], 0, v6
	s_and_saveexec_b64 s[28:29], s[6:7]
	s_cbranch_execz .LBB6_18
; %bb.16:                               ;   in Loop: Header=BB6_9 Depth=1
	s_mov_b64 s[30:31], 0
.LBB6_17:                               ;   Parent Loop BB6_9 Depth=1
                                        ; =>  This Inner Loop Header: Depth=2
	global_load_dword v6, v[9:10], off glc
	s_waitcnt vmcnt(0)
	v_cmp_ne_u32_e64 s[6:7], 0, v6
	s_or_b64 s[30:31], s[6:7], s[30:31]
	s_andn2_b64 exec, exec, s[30:31]
	s_cbranch_execnz .LBB6_17
.LBB6_18:                               ;   in Loop: Header=BB6_9 Depth=1
	s_or_b64 exec, exec, s[28:29]
	s_waitcnt lgkmcnt(0)
	buffer_wbinvl1_vol
	s_and_saveexec_b64 s[28:29], s[2:3]
	s_cbranch_execz .LBB6_22
; %bb.19:                               ;   in Loop: Header=BB6_9 Depth=1
	v_mov_b32_e32 v6, 0
	s_and_saveexec_b64 s[30:31], s[0:1]
	s_cbranch_execz .LBB6_21
; %bb.20:                               ;   in Loop: Header=BB6_9 Depth=1
	v_mad_u64_u32 v[9:10], s[6:7], v8, s33, v[4:5]
	v_mov_b32_e32 v6, s13
	v_ashrrev_i32_e32 v10, 31, v9
	v_lshlrev_b64 v[9:10], 2, v[9:10]
	v_add_co_u32_e64 v9, s[6:7], s12, v9
	v_addc_co_u32_e64 v10, s[6:7], v6, v10, s[6:7]
	global_load_dword v6, v[9:10], off
.LBB6_21:                               ;   in Loop: Header=BB6_9 Depth=1
	s_or_b64 exec, exec, s[30:31]
	s_waitcnt vmcnt(0)
	ds_write_b32 v16, v6
.LBB6_22:                               ;   in Loop: Header=BB6_9 Depth=1
	s_or_b64 exec, exec, s[28:29]
	s_waitcnt lgkmcnt(0)
	s_and_saveexec_b64 s[6:7], s[0:1]
	s_cbranch_execz .LBB6_7
; %bb.23:                               ;   in Loop: Header=BB6_9 Depth=1
	ds_read2_b32 v[9:10], v17 offset1:8
	ds_read_b128 v[20:23], v15
	ds_read_b128 v[24:27], v15 offset:16
	ds_read2_b32 v[28:29], v17 offset0:16 offset1:24
	ds_read2_b32 v[30:31], v17 offset0:32 offset1:40
	s_waitcnt lgkmcnt(3)
	v_fma_f32 v6, -v9, v20, v11
	v_fma_f32 v6, -v10, v21, v6
	ds_read2_b32 v[9:10], v17 offset0:48 offset1:56
	s_waitcnt lgkmcnt(2)
	v_fma_f32 v6, -v28, v22, v6
	v_fma_f32 v6, -v29, v23, v6
	s_waitcnt lgkmcnt(1)
	v_fma_f32 v6, -v30, v24, v6
	v_fma_f32 v6, -v31, v25, v6
	;; [unrolled: 3-line block ×3, first 2 shown]
	s_branch .LBB6_7
.LBB6_24:                               ;   in Loop: Header=BB6_9 Depth=1
                                        ; implicit-def: $vgpr8
	s_branch .LBB6_12
.LBB6_25:
	s_or_b64 exec, exec, s[24:25]
.LBB6_26:
	s_or_b64 exec, exec, s[22:23]
	s_cmp_gt_i32 s33, 0
	v_cmp_eq_u32_e32 vcc, v8, v1
	s_cselect_b64 s[2:3], -1, 0
	s_and_b64 s[4:5], s[2:3], vcc
	s_mov_b64 s[2:3], 0
	s_and_saveexec_b64 s[6:7], s[4:5]
	s_cbranch_execnz .LBB6_30
; %bb.27:
	s_or_b64 exec, exec, s[6:7]
	s_and_saveexec_b64 s[4:5], s[0:1]
	s_cbranch_execnz .LBB6_41
.LBB6_28:
	s_or_b64 exec, exec, s[4:5]
	v_cmp_eq_u32_e32 vcc, 0, v4
	s_and_b64 exec, exec, vcc
	s_cbranch_execnz .LBB6_42
.LBB6_29:
	s_endpgm
.LBB6_30:
	v_lshlrev_b32_e32 v5, 8, v12
	v_mad_u64_u32 v[6:7], s[4:5], s33, 36, v[5:6]
	s_cmp_eq_u32 s9, 0
	s_cselect_b64 s[2:3], -1, 0
	v_mbcnt_lo_u32_b32 v0, -1, 0
	v_mbcnt_hi_u32_b32 v0, -1, v0
	v_lshl_add_u32 v5, s33, 5, v5
	s_movk_i32 s4, 0xffe0
	v_cndmask_b32_e64 v7, 0, 1, s[2:3]
	v_and_b32_e32 v0, 64, v0
	s_add_i32 s9, s33, -1
	v_add3_u32 v5, v5, v13, s4
	v_subrev_u32_e32 v6, 36, v6
	s_mov_b64 s[10:11], 0
	v_cmp_ne_u32_e64 s[2:3], 1, v7
	s_and_b64 vcc, exec, s[2:3]
	v_mov_b32_e32 v7, 1.0
	s_cbranch_vccnz .LBB6_32
.LBB6_31:
	ds_read_b32 v7, v6
.LBB6_32:                               ; =>This Inner Loop Header: Depth=1
	v_and_or_b32 v8, s9, 63, v0
	v_lshlrev_b32_e32 v8, 2, v8
	ds_bpermute_b32 v8, v8, v11
	s_waitcnt lgkmcnt(0)
	v_cmp_eq_f32_e64 s[4:5], 0, v7
	s_and_saveexec_b64 s[16:17], s[0:1]
	s_cbranch_execz .LBB6_38
; %bb.33:                               ;   in Loop: Header=BB6_32 Depth=1
	v_div_scale_f32 v9, s[18:19], v7, v7, v8
	v_div_scale_f32 v10, vcc, v8, v7, v8
	v_rcp_f32_e32 v12, v9
	v_fma_f32 v13, -v9, v12, 1.0
	v_fmac_f32_e32 v12, v13, v12
	v_mul_f32_e32 v13, v10, v12
	v_fma_f32 v14, -v9, v13, v10
	v_fmac_f32_e32 v13, v14, v12
	v_fma_f32 v9, -v9, v13, v10
	v_div_fmas_f32 v9, v9, v12, v13
	v_cmp_le_i32_e32 vcc, s9, v4
	v_div_fixup_f32 v7, v9, v7, v8
	v_cndmask_b32_e64 v7, v7, v8, s[4:5]
	s_and_saveexec_b64 s[18:19], vcc
	s_xor_b64 s[18:19], exec, s[18:19]
; %bb.34:                               ;   in Loop: Header=BB6_32 Depth=1
	v_cmp_eq_u32_e32 vcc, s9, v4
	v_cndmask_b32_e32 v11, v11, v7, vcc
                                        ; implicit-def: $vgpr7
; %bb.35:                               ;   in Loop: Header=BB6_32 Depth=1
	s_andn2_saveexec_b64 s[18:19], s[18:19]
	s_cbranch_execz .LBB6_37
; %bb.36:                               ;   in Loop: Header=BB6_32 Depth=1
	ds_read_b32 v8, v5
	s_waitcnt lgkmcnt(0)
	v_fma_f32 v11, -v7, v8, v11
.LBB6_37:                               ;   in Loop: Header=BB6_32 Depth=1
	s_or_b64 exec, exec, s[18:19]
.LBB6_38:                               ;   in Loop: Header=BB6_32 Depth=1
	s_or_b64 exec, exec, s[16:17]
	s_or_b64 s[10:11], s[4:5], s[10:11]
	s_add_i32 s4, s9, -1
	s_add_i32 s5, s9, 1
	v_subrev_u32_e32 v5, 32, v5
	s_cmp_gt_u32 s5, 1
	v_subrev_u32_e32 v6, 36, v6
	s_cbranch_scc0 .LBB6_40
; %bb.39:                               ;   in Loop: Header=BB6_32 Depth=1
	s_mov_b32 s9, s4
	s_and_b64 vcc, exec, s[2:3]
	v_mov_b32_e32 v7, 1.0
	s_cbranch_vccnz .LBB6_32
	s_branch .LBB6_31
.LBB6_40:
	s_and_b64 s[2:3], s[10:11], exec
	s_or_b64 exec, exec, s[6:7]
	s_and_saveexec_b64 s[4:5], s[0:1]
	s_cbranch_execz .LBB6_28
.LBB6_41:
	v_mad_u64_u32 v[5:6], s[0:1], v1, s33, v[4:5]
	v_mov_b32_e32 v0, s13
	v_ashrrev_i32_e32 v6, 31, v5
	v_lshlrev_b64 v[5:6], 2, v[5:6]
	v_add_co_u32_e32 v5, vcc, s12, v5
	v_addc_co_u32_e32 v6, vcc, v0, v6, vcc
	global_store_dword v[5:6], v11, off
	s_or_b64 exec, exec, s[4:5]
	v_cmp_eq_u32_e32 vcc, 0, v4
	s_and_b64 exec, exec, vcc
	s_cbranch_execz .LBB6_29
.LBB6_42:
	v_mov_b32_e32 v0, s15
	v_add_co_u32_e32 v2, vcc, s14, v2
	v_addc_co_u32_e32 v3, vcc, v0, v3, vcc
	v_mov_b32_e32 v0, 1
	s_waitcnt vmcnt(0) lgkmcnt(0)
	global_store_dword v[2:3], v0, off
	s_and_b64 exec, exec, s[2:3]
	s_cbranch_execz .LBB6_29
; %bb.43:
	s_mov_b64 s[0:1], exec
	v_add_u32_e32 v0, s8, v1
	s_brev_b32 s2, -2
.LBB6_44:                               ; =>This Inner Loop Header: Depth=1
	s_ff1_i32_b64 s3, s[0:1]
	v_readlane_b32 s6, v0, s3
	s_lshl_b64 s[4:5], 1, s3
	s_min_i32 s2, s2, s6
	s_andn2_b64 s[0:1], s[0:1], s[4:5]
	s_cmp_lg_u64 s[0:1], 0
	s_cbranch_scc1 .LBB6_44
; %bb.45:
	v_mbcnt_lo_u32_b32 v0, exec_lo, 0
	v_mbcnt_hi_u32_b32 v0, exec_hi, v0
	v_cmp_eq_u32_e32 vcc, 0, v0
	s_and_saveexec_b64 s[0:1], vcc
	s_xor_b64 s[0:1], exec, s[0:1]
	s_cbranch_execz .LBB6_29
; %bb.46:
	v_mov_b32_e32 v0, 0
	v_mov_b32_e32 v1, s2
	global_atomic_smin v0, v1, s[20:21]
	s_endpgm
	.section	.rodata,"a",@progbits
	.p2align	6, 0x0
	.amdhsa_kernel _ZN9rocsparseL18bsrsv_upper_sharedILj128ELj64ELi8ELb0EfEEviNS_24const_host_device_scalarIT3_EEPKiS5_PKS2_iS7_PS2_PiS9_S9_21rocsparse_index_base_20rocsparse_diag_type_20rocsparse_direction_b
		.amdhsa_group_segment_fixed_size 576
		.amdhsa_private_segment_fixed_size 0
		.amdhsa_kernarg_size 104
		.amdhsa_user_sgpr_count 6
		.amdhsa_user_sgpr_private_segment_buffer 1
		.amdhsa_user_sgpr_dispatch_ptr 0
		.amdhsa_user_sgpr_queue_ptr 0
		.amdhsa_user_sgpr_kernarg_segment_ptr 1
		.amdhsa_user_sgpr_dispatch_id 0
		.amdhsa_user_sgpr_flat_scratch_init 0
		.amdhsa_user_sgpr_private_segment_size 0
		.amdhsa_uses_dynamic_stack 0
		.amdhsa_system_sgpr_private_segment_wavefront_offset 0
		.amdhsa_system_sgpr_workgroup_id_x 1
		.amdhsa_system_sgpr_workgroup_id_y 0
		.amdhsa_system_sgpr_workgroup_id_z 0
		.amdhsa_system_sgpr_workgroup_info 0
		.amdhsa_system_vgpr_workitem_id 0
		.amdhsa_next_free_vgpr 32
		.amdhsa_next_free_sgpr 34
		.amdhsa_reserve_vcc 1
		.amdhsa_reserve_flat_scratch 0
		.amdhsa_float_round_mode_32 0
		.amdhsa_float_round_mode_16_64 0
		.amdhsa_float_denorm_mode_32 3
		.amdhsa_float_denorm_mode_16_64 3
		.amdhsa_dx10_clamp 1
		.amdhsa_ieee_mode 1
		.amdhsa_fp16_overflow 0
		.amdhsa_exception_fp_ieee_invalid_op 0
		.amdhsa_exception_fp_denorm_src 0
		.amdhsa_exception_fp_ieee_div_zero 0
		.amdhsa_exception_fp_ieee_overflow 0
		.amdhsa_exception_fp_ieee_underflow 0
		.amdhsa_exception_fp_ieee_inexact 0
		.amdhsa_exception_int_div_zero 0
	.end_amdhsa_kernel
	.section	.text._ZN9rocsparseL18bsrsv_upper_sharedILj128ELj64ELi8ELb0EfEEviNS_24const_host_device_scalarIT3_EEPKiS5_PKS2_iS7_PS2_PiS9_S9_21rocsparse_index_base_20rocsparse_diag_type_20rocsparse_direction_b,"axG",@progbits,_ZN9rocsparseL18bsrsv_upper_sharedILj128ELj64ELi8ELb0EfEEviNS_24const_host_device_scalarIT3_EEPKiS5_PKS2_iS7_PS2_PiS9_S9_21rocsparse_index_base_20rocsparse_diag_type_20rocsparse_direction_b,comdat
.Lfunc_end6:
	.size	_ZN9rocsparseL18bsrsv_upper_sharedILj128ELj64ELi8ELb0EfEEviNS_24const_host_device_scalarIT3_EEPKiS5_PKS2_iS7_PS2_PiS9_S9_21rocsparse_index_base_20rocsparse_diag_type_20rocsparse_direction_b, .Lfunc_end6-_ZN9rocsparseL18bsrsv_upper_sharedILj128ELj64ELi8ELb0EfEEviNS_24const_host_device_scalarIT3_EEPKiS5_PKS2_iS7_PS2_PiS9_S9_21rocsparse_index_base_20rocsparse_diag_type_20rocsparse_direction_b
                                        ; -- End function
	.set _ZN9rocsparseL18bsrsv_upper_sharedILj128ELj64ELi8ELb0EfEEviNS_24const_host_device_scalarIT3_EEPKiS5_PKS2_iS7_PS2_PiS9_S9_21rocsparse_index_base_20rocsparse_diag_type_20rocsparse_direction_b.num_vgpr, 32
	.set _ZN9rocsparseL18bsrsv_upper_sharedILj128ELj64ELi8ELb0EfEEviNS_24const_host_device_scalarIT3_EEPKiS5_PKS2_iS7_PS2_PiS9_S9_21rocsparse_index_base_20rocsparse_diag_type_20rocsparse_direction_b.num_agpr, 0
	.set _ZN9rocsparseL18bsrsv_upper_sharedILj128ELj64ELi8ELb0EfEEviNS_24const_host_device_scalarIT3_EEPKiS5_PKS2_iS7_PS2_PiS9_S9_21rocsparse_index_base_20rocsparse_diag_type_20rocsparse_direction_b.numbered_sgpr, 34
	.set _ZN9rocsparseL18bsrsv_upper_sharedILj128ELj64ELi8ELb0EfEEviNS_24const_host_device_scalarIT3_EEPKiS5_PKS2_iS7_PS2_PiS9_S9_21rocsparse_index_base_20rocsparse_diag_type_20rocsparse_direction_b.num_named_barrier, 0
	.set _ZN9rocsparseL18bsrsv_upper_sharedILj128ELj64ELi8ELb0EfEEviNS_24const_host_device_scalarIT3_EEPKiS5_PKS2_iS7_PS2_PiS9_S9_21rocsparse_index_base_20rocsparse_diag_type_20rocsparse_direction_b.private_seg_size, 0
	.set _ZN9rocsparseL18bsrsv_upper_sharedILj128ELj64ELi8ELb0EfEEviNS_24const_host_device_scalarIT3_EEPKiS5_PKS2_iS7_PS2_PiS9_S9_21rocsparse_index_base_20rocsparse_diag_type_20rocsparse_direction_b.uses_vcc, 1
	.set _ZN9rocsparseL18bsrsv_upper_sharedILj128ELj64ELi8ELb0EfEEviNS_24const_host_device_scalarIT3_EEPKiS5_PKS2_iS7_PS2_PiS9_S9_21rocsparse_index_base_20rocsparse_diag_type_20rocsparse_direction_b.uses_flat_scratch, 0
	.set _ZN9rocsparseL18bsrsv_upper_sharedILj128ELj64ELi8ELb0EfEEviNS_24const_host_device_scalarIT3_EEPKiS5_PKS2_iS7_PS2_PiS9_S9_21rocsparse_index_base_20rocsparse_diag_type_20rocsparse_direction_b.has_dyn_sized_stack, 0
	.set _ZN9rocsparseL18bsrsv_upper_sharedILj128ELj64ELi8ELb0EfEEviNS_24const_host_device_scalarIT3_EEPKiS5_PKS2_iS7_PS2_PiS9_S9_21rocsparse_index_base_20rocsparse_diag_type_20rocsparse_direction_b.has_recursion, 0
	.set _ZN9rocsparseL18bsrsv_upper_sharedILj128ELj64ELi8ELb0EfEEviNS_24const_host_device_scalarIT3_EEPKiS5_PKS2_iS7_PS2_PiS9_S9_21rocsparse_index_base_20rocsparse_diag_type_20rocsparse_direction_b.has_indirect_call, 0
	.section	.AMDGPU.csdata,"",@progbits
; Kernel info:
; codeLenInByte = 1568
; TotalNumSgprs: 38
; NumVgprs: 32
; ScratchSize: 0
; MemoryBound: 0
; FloatMode: 240
; IeeeMode: 1
; LDSByteSize: 576 bytes/workgroup (compile time only)
; SGPRBlocks: 4
; VGPRBlocks: 7
; NumSGPRsForWavesPerEU: 38
; NumVGPRsForWavesPerEU: 32
; Occupancy: 8
; WaveLimiterHint : 1
; COMPUTE_PGM_RSRC2:SCRATCH_EN: 0
; COMPUTE_PGM_RSRC2:USER_SGPR: 6
; COMPUTE_PGM_RSRC2:TRAP_HANDLER: 0
; COMPUTE_PGM_RSRC2:TGID_X_EN: 1
; COMPUTE_PGM_RSRC2:TGID_Y_EN: 0
; COMPUTE_PGM_RSRC2:TGID_Z_EN: 0
; COMPUTE_PGM_RSRC2:TIDIG_COMP_CNT: 0
	.section	.text._ZN9rocsparseL18bsrsv_lower_sharedILj128ELj64ELi16ELb1EfEEviNS_24const_host_device_scalarIT3_EEPKiS5_PKS2_iS7_PS2_PiS9_S9_21rocsparse_index_base_20rocsparse_diag_type_20rocsparse_direction_b,"axG",@progbits,_ZN9rocsparseL18bsrsv_lower_sharedILj128ELj64ELi16ELb1EfEEviNS_24const_host_device_scalarIT3_EEPKiS5_PKS2_iS7_PS2_PiS9_S9_21rocsparse_index_base_20rocsparse_diag_type_20rocsparse_direction_b,comdat
	.globl	_ZN9rocsparseL18bsrsv_lower_sharedILj128ELj64ELi16ELb1EfEEviNS_24const_host_device_scalarIT3_EEPKiS5_PKS2_iS7_PS2_PiS9_S9_21rocsparse_index_base_20rocsparse_diag_type_20rocsparse_direction_b ; -- Begin function _ZN9rocsparseL18bsrsv_lower_sharedILj128ELj64ELi16ELb1EfEEviNS_24const_host_device_scalarIT3_EEPKiS5_PKS2_iS7_PS2_PiS9_S9_21rocsparse_index_base_20rocsparse_diag_type_20rocsparse_direction_b
	.p2align	8
	.type	_ZN9rocsparseL18bsrsv_lower_sharedILj128ELj64ELi16ELb1EfEEviNS_24const_host_device_scalarIT3_EEPKiS5_PKS2_iS7_PS2_PiS9_S9_21rocsparse_index_base_20rocsparse_diag_type_20rocsparse_direction_b,@function
_ZN9rocsparseL18bsrsv_lower_sharedILj128ELj64ELi16ELb1EfEEviNS_24const_host_device_scalarIT3_EEPKiS5_PKS2_iS7_PS2_PiS9_S9_21rocsparse_index_base_20rocsparse_diag_type_20rocsparse_direction_b: ; @_ZN9rocsparseL18bsrsv_lower_sharedILj128ELj64ELi16ELb1EfEEviNS_24const_host_device_scalarIT3_EEPKiS5_PKS2_iS7_PS2_PiS9_S9_21rocsparse_index_base_20rocsparse_diag_type_20rocsparse_direction_b
; %bb.0:
	s_load_dwordx4 s[8:11], s[4:5], 0x58
	s_load_dwordx2 s[2:3], s[4:5], 0x8
	s_waitcnt lgkmcnt(0)
	s_bitcmp1_b32 s11, 0
	s_cselect_b64 s[0:1], -1, 0
	s_and_b64 vcc, exec, s[0:1]
	s_cbranch_vccnz .LBB7_2
; %bb.1:
	s_load_dword s2, s[2:3], 0x0
.LBB7_2:
	s_nop 0
	s_load_dword s3, s[4:5], 0x0
	s_lshl_b32 s0, s6, 1
	v_lshrrev_b32_e32 v5, 6, v0
	s_and_b32 s0, s0, 0x3fffffe
	v_or_b32_e32 v1, s0, v5
	s_waitcnt lgkmcnt(0)
	v_cmp_gt_i32_e32 vcc, s3, v1
	s_and_saveexec_b64 s[0:1], vcc
	s_cbranch_execz .LBB7_33
; %bb.3:
	s_load_dwordx2 s[0:1], s[4:5], 0x48
	s_load_dwordx4 s[12:15], s[4:5], 0x38
	v_lshlrev_b32_e32 v1, 2, v1
	s_waitcnt lgkmcnt(0)
	global_load_dword v1, v1, s[0:1]
	s_load_dwordx2 s[0:1], s[4:5], 0x10
	s_load_dword s33, s[4:5], 0x28
	s_waitcnt lgkmcnt(0)
	v_mov_b32_e32 v4, s1
	s_waitcnt vmcnt(0)
	v_ashrrev_i32_e32 v2, 31, v1
	v_lshlrev_b64 v[2:3], 2, v[1:2]
	v_add_co_u32_e32 v6, vcc, s0, v2
	v_addc_co_u32_e32 v7, vcc, v4, v3, vcc
	global_load_dwordx2 v[7:8], v[6:7], off
	v_and_b32_e32 v4, 63, v0
	v_cmp_gt_i32_e64 s[0:1], s33, v4
	v_mov_b32_e32 v6, 0
	s_and_saveexec_b64 s[6:7], s[0:1]
	s_cbranch_execz .LBB7_5
; %bb.4:
	v_mad_u64_u32 v[9:10], s[16:17], v1, s33, v[4:5]
	s_load_dwordx2 s[16:17], s[4:5], 0x30
	v_ashrrev_i32_e32 v10, 31, v9
	v_lshlrev_b64 v[9:10], 2, v[9:10]
	s_waitcnt lgkmcnt(0)
	v_mov_b32_e32 v6, s17
	v_add_co_u32_e32 v9, vcc, s16, v9
	v_addc_co_u32_e32 v10, vcc, v6, v10, vcc
	global_load_dword v6, v[9:10], off
.LBB7_5:
	s_or_b64 exec, exec, s[6:7]
	s_load_dwordx2 s[20:21], s[4:5], 0x50
	s_waitcnt vmcnt(0)
	v_mul_f32_e32 v9, s2, v6
	v_lshlrev_b32_e32 v10, 10, v5
	v_cmp_lt_i32_e32 vcc, v7, v8
	v_mov_b32_e32 v6, s3
	s_and_saveexec_b64 s[22:23], vcc
	s_cbranch_execz .LBB7_30
; %bb.6:
	v_mov_b32_e32 v5, 0x800
	v_and_or_b32 v11, v0, 64, v5
	v_subrev_u32_e32 v5, s8, v7
	v_and_b32_e32 v0, 15, v0
	v_mad_u64_u32 v[6:7], s[6:7], s33, v5, v[0:1]
	s_load_dwordx4 s[16:19], s[4:5], 0x18
	v_lshrrev_b32_e32 v13, 4, v4
	v_mul_lo_u32 v16, s33, v6
	v_lshlrev_b32_e32 v7, 2, v4
	s_cmp_lg_u32 s10, 0
	v_add_u32_e32 v14, v11, v7
	v_add_u32_e32 v15, v10, v7
	v_lshlrev_b32_e32 v6, 6, v13
	v_lshlrev_b32_e32 v7, 2, v0
	v_subrev_u32_e32 v12, s8, v8
	v_cmp_gt_i32_e64 s[2:3], s33, v0
	s_cselect_b64 s[10:11], -1, 0
	v_cmp_gt_u32_e64 s[4:5], 16, v4
	s_mul_i32 s34, s33, s33
	v_add3_u32 v17, v10, v6, v7
	s_mov_b64 s[24:25], 0
	s_waitcnt lgkmcnt(0)
	v_mov_b32_e32 v18, s17
	s_branch .LBB7_9
.LBB7_7:                                ;   in Loop: Header=BB7_9 Depth=1
	s_or_b64 exec, exec, s[6:7]
.LBB7_8:                                ;   in Loop: Header=BB7_9 Depth=1
	s_or_b64 exec, exec, s[26:27]
	v_add_u32_e32 v5, 1, v5
	v_cmp_ge_i32_e64 s[6:7], v5, v12
	s_xor_b64 s[26:27], vcc, -1
	s_or_b64 s[6:7], s[26:27], s[6:7]
	s_and_b64 s[6:7], exec, s[6:7]
	s_or_b64 s[24:25], s[6:7], s[24:25]
	v_add_u32_e32 v16, s34, v16
	s_andn2_b64 exec, exec, s[24:25]
	s_cbranch_execz .LBB7_29
.LBB7_9:                                ; =>This Loop Header: Depth=1
                                        ;     Child Loop BB7_12 Depth 2
                                        ;     Child Loop BB7_21 Depth 2
                                        ;       Child Loop BB7_22 Depth 3
	v_ashrrev_i32_e32 v6, 31, v5
	v_lshlrev_b64 v[6:7], 2, v[5:6]
	v_mul_lo_u32 v19, v5, s33
	v_add_co_u32_e32 v6, vcc, s16, v6
	v_addc_co_u32_e32 v7, vcc, v18, v7, vcc
	global_load_dword v8, v[6:7], off
	s_mov_b64 s[6:7], 0
	v_mov_b32_e32 v20, v17
	v_mov_b32_e32 v21, v13
	s_branch .LBB7_12
.LBB7_10:                               ;   in Loop: Header=BB7_12 Depth=2
	v_ashrrev_i32_e32 v7, 31, v6
	v_lshlrev_b64 v[6:7], 2, v[6:7]
	v_mov_b32_e32 v22, s19
	v_add_co_u32_e32 v6, vcc, s18, v6
	v_addc_co_u32_e32 v7, vcc, v22, v7, vcc
	global_load_dword v6, v[6:7], off
.LBB7_11:                               ;   in Loop: Header=BB7_12 Depth=2
	s_or_b64 exec, exec, s[26:27]
	s_waitcnt vmcnt(0)
	ds_write_b32 v20, v6
	v_add_u32_e32 v6, 4, v21
	v_cmp_lt_u32_e32 vcc, 11, v21
	v_add_u32_e32 v20, 0x100, v20
	s_or_b64 s[6:7], vcc, s[6:7]
	v_mov_b32_e32 v21, v6
	s_andn2_b64 exec, exec, s[6:7]
	s_cbranch_execz .LBB7_17
.LBB7_12:                               ;   Parent Loop BB7_9 Depth=1
                                        ; =>  This Inner Loop Header: Depth=2
	v_cmp_gt_i32_e32 vcc, s33, v21
	s_and_b64 s[28:29], s[2:3], vcc
	v_mov_b32_e32 v6, 0
	s_and_saveexec_b64 s[26:27], s[28:29]
	s_cbranch_execz .LBB7_11
; %bb.13:                               ;   in Loop: Header=BB7_12 Depth=2
	s_and_b64 vcc, exec, s[10:11]
	s_cbranch_vccz .LBB7_15
; %bb.14:                               ;   in Loop: Header=BB7_12 Depth=2
	v_add_u32_e32 v6, v21, v19
	v_mad_u64_u32 v[6:7], s[28:29], v6, s33, v[0:1]
	s_cbranch_execnz .LBB7_10
	s_branch .LBB7_16
.LBB7_15:                               ;   in Loop: Header=BB7_12 Depth=2
                                        ; implicit-def: $vgpr6
.LBB7_16:                               ;   in Loop: Header=BB7_12 Depth=2
	v_add_u32_e32 v6, v16, v21
	s_branch .LBB7_10
.LBB7_17:                               ;   in Loop: Header=BB7_9 Depth=1
	s_or_b64 exec, exec, s[6:7]
	v_subrev_u32_e32 v6, s8, v8
	v_cmp_lt_i32_e32 vcc, v6, v1
	s_and_saveexec_b64 s[26:27], vcc
	s_cbranch_execz .LBB7_8
; %bb.18:                               ;   in Loop: Header=BB7_9 Depth=1
	v_ashrrev_i32_e32 v7, 31, v6
	v_lshlrev_b64 v[7:8], 2, v[6:7]
	v_mov_b32_e32 v19, s15
	v_add_co_u32_e64 v7, s[6:7], s14, v7
	v_addc_co_u32_e64 v8, s[6:7], v19, v8, s[6:7]
	global_load_dword v19, v[7:8], off glc
	s_waitcnt vmcnt(0)
	v_cmp_eq_u32_e64 s[6:7], 0, v19
	s_and_saveexec_b64 s[28:29], s[6:7]
	s_cbranch_execz .LBB7_23
; %bb.19:                               ;   in Loop: Header=BB7_9 Depth=1
	s_mov_b32 s17, 0
	s_mov_b64 s[30:31], 0
	s_branch .LBB7_21
.LBB7_20:                               ;   in Loop: Header=BB7_21 Depth=2
	global_load_dword v19, v[7:8], off glc
	s_cmpk_lt_u32 s17, 0xf43
	s_cselect_b64 s[6:7], -1, 0
	s_cmp_lg_u64 s[6:7], 0
	s_addc_u32 s17, s17, 0
	s_waitcnt vmcnt(0)
	v_cmp_ne_u32_e64 s[6:7], 0, v19
	s_or_b64 s[30:31], s[6:7], s[30:31]
	s_andn2_b64 exec, exec, s[30:31]
	s_cbranch_execz .LBB7_23
.LBB7_21:                               ;   Parent Loop BB7_9 Depth=1
                                        ; =>  This Loop Header: Depth=2
                                        ;       Child Loop BB7_22 Depth 3
	s_cmp_eq_u32 s17, 0
	s_mov_b32 s6, s17
	s_cbranch_scc1 .LBB7_20
.LBB7_22:                               ;   Parent Loop BB7_9 Depth=1
                                        ;     Parent Loop BB7_21 Depth=2
                                        ; =>    This Inner Loop Header: Depth=3
	s_add_i32 s6, s6, -1
	s_cmp_eq_u32 s6, 0
	s_sleep 1
	s_cbranch_scc0 .LBB7_22
	s_branch .LBB7_20
.LBB7_23:                               ;   in Loop: Header=BB7_9 Depth=1
	s_or_b64 exec, exec, s[28:29]
	s_waitcnt lgkmcnt(0)
	buffer_wbinvl1_vol
	s_and_saveexec_b64 s[28:29], s[4:5]
	s_cbranch_execz .LBB7_27
; %bb.24:                               ;   in Loop: Header=BB7_9 Depth=1
	v_mov_b32_e32 v7, 0
	s_and_saveexec_b64 s[30:31], s[0:1]
	s_cbranch_execz .LBB7_26
; %bb.25:                               ;   in Loop: Header=BB7_9 Depth=1
	v_mad_u64_u32 v[7:8], s[6:7], v6, s33, v[4:5]
	v_mov_b32_e32 v19, s13
	v_ashrrev_i32_e32 v8, 31, v7
	v_lshlrev_b64 v[7:8], 2, v[7:8]
	v_add_co_u32_e64 v7, s[6:7], s12, v7
	v_addc_co_u32_e64 v8, s[6:7], v19, v8, s[6:7]
	global_load_dword v7, v[7:8], off
.LBB7_26:                               ;   in Loop: Header=BB7_9 Depth=1
	s_or_b64 exec, exec, s[30:31]
	s_waitcnt vmcnt(0)
	ds_write_b32 v14, v7
.LBB7_27:                               ;   in Loop: Header=BB7_9 Depth=1
	s_or_b64 exec, exec, s[28:29]
	s_waitcnt lgkmcnt(0)
	s_and_saveexec_b64 s[6:7], s[0:1]
	s_cbranch_execz .LBB7_7
; %bb.28:                               ;   in Loop: Header=BB7_9 Depth=1
	ds_read2_b32 v[7:8], v15 offset1:16
	ds_read_b128 v[19:22], v11
	ds_read_b128 v[23:26], v11 offset:16
	ds_read2_b32 v[35:36], v15 offset0:32 offset1:48
	ds_read_b128 v[27:30], v11 offset:32
	ds_read_b128 v[31:34], v11 offset:48
	s_waitcnt lgkmcnt(4)
	v_fma_f32 v7, -v7, v19, v9
	ds_read2_b32 v[37:38], v15 offset0:64 offset1:80
	v_fma_f32 v7, -v8, v20, v7
	s_waitcnt lgkmcnt(3)
	v_fma_f32 v9, -v35, v21, v7
	ds_read2_b32 v[7:8], v15 offset0:96 offset1:112
	v_fma_f32 v9, -v36, v22, v9
	;; [unrolled: 4-line block ×3, first 2 shown]
	s_waitcnt lgkmcnt(1)
	v_fma_f32 v7, -v7, v25, v9
	v_fma_f32 v9, -v8, v26, v7
	ds_read2_b32 v[7:8], v15 offset0:160 offset1:176
	ds_read2_b32 v[21:22], v15 offset0:192 offset1:208
	s_waitcnt lgkmcnt(2)
	v_fma_f32 v9, -v19, v27, v9
	v_fma_f32 v9, -v20, v28, v9
	ds_read2_b32 v[19:20], v15 offset0:224 offset1:240
	s_waitcnt lgkmcnt(2)
	v_fma_f32 v7, -v7, v29, v9
	v_fma_f32 v7, -v8, v30, v7
	s_waitcnt lgkmcnt(1)
	v_fma_f32 v7, -v21, v31, v7
	v_fma_f32 v7, -v22, v32, v7
	;; [unrolled: 3-line block ×3, first 2 shown]
	s_branch .LBB7_7
.LBB7_29:
	s_or_b64 exec, exec, s[24:25]
.LBB7_30:
	s_or_b64 exec, exec, s[22:23]
	s_cmp_gt_i32 s33, 0
	v_cmp_eq_u32_e32 vcc, v6, v1
	s_cselect_b64 s[2:3], -1, 0
	s_mov_b32 s22, 0
	s_and_b64 s[4:5], s[2:3], vcc
	s_mov_b64 s[2:3], 0
	s_and_saveexec_b64 s[6:7], s[4:5]
	s_cbranch_execnz .LBB7_34
; %bb.31:
	s_or_b64 exec, exec, s[6:7]
	s_and_saveexec_b64 s[4:5], s[0:1]
	s_cbranch_execnz .LBB7_45
.LBB7_32:
	s_or_b64 exec, exec, s[4:5]
	v_cmp_eq_u32_e32 vcc, 0, v4
	s_and_b64 exec, exec, vcc
	s_cbranch_execnz .LBB7_46
.LBB7_33:
	s_endpgm
.LBB7_34:
	s_cmp_eq_u32 s9, 0
	v_mbcnt_lo_u32_b32 v0, -1, 0
	s_cselect_b64 s[2:3], -1, 0
	v_mbcnt_hi_u32_b32 v0, -1, v0
	v_cndmask_b32_e64 v6, 0, 1, s[2:3]
	v_and_b32_e32 v0, 64, v0
	v_lshl_add_u32 v5, v4, 2, v10
	s_mov_b64 s[10:11], 0
	v_cmp_ne_u32_e64 s[2:3], 1, v6
	s_branch .LBB7_37
.LBB7_35:                               ;   in Loop: Header=BB7_37 Depth=1
	s_or_b64 exec, exec, s[18:19]
.LBB7_36:                               ;   in Loop: Header=BB7_37 Depth=1
	s_or_b64 exec, exec, s[16:17]
	s_or_b64 s[10:11], s[4:5], s[10:11]
	s_add_i32 s22, s22, 1
	v_add_u32_e32 v5, 64, v5
	s_cmp_lg_u32 s33, s22
	v_add_u32_e32 v10, 0x44, v10
	s_cbranch_scc0 .LBB7_44
.LBB7_37:                               ; =>This Inner Loop Header: Depth=1
	s_and_b64 vcc, exec, s[2:3]
	v_mov_b32_e32 v6, 1.0
	s_cbranch_vccnz .LBB7_39
; %bb.38:                               ;   in Loop: Header=BB7_37 Depth=1
	ds_read_b32 v6, v10
.LBB7_39:                               ;   in Loop: Header=BB7_37 Depth=1
	v_and_or_b32 v7, s22, 63, v0
	v_lshlrev_b32_e32 v7, 2, v7
	ds_bpermute_b32 v7, v7, v9
	s_waitcnt lgkmcnt(0)
	v_cmp_eq_f32_e64 s[4:5], 0, v6
	s_and_saveexec_b64 s[16:17], s[0:1]
	s_cbranch_execz .LBB7_36
; %bb.40:                               ;   in Loop: Header=BB7_37 Depth=1
	v_div_scale_f32 v8, s[18:19], v6, v6, v7
	v_div_scale_f32 v11, vcc, v7, v6, v7
	v_rcp_f32_e32 v12, v8
	v_fma_f32 v13, -v8, v12, 1.0
	v_fmac_f32_e32 v12, v13, v12
	v_mul_f32_e32 v13, v11, v12
	v_fma_f32 v14, -v8, v13, v11
	v_fmac_f32_e32 v13, v14, v12
	v_fma_f32 v8, -v8, v13, v11
	v_div_fmas_f32 v8, v8, v12, v13
	v_cmp_ge_u32_e32 vcc, s22, v4
	v_div_fixup_f32 v6, v8, v6, v7
	v_cndmask_b32_e64 v6, v6, v7, s[4:5]
	s_and_saveexec_b64 s[18:19], vcc
	s_xor_b64 s[18:19], exec, s[18:19]
; %bb.41:                               ;   in Loop: Header=BB7_37 Depth=1
	v_cmp_eq_u32_e32 vcc, s22, v4
	v_cndmask_b32_e32 v9, v9, v6, vcc
                                        ; implicit-def: $vgpr6
; %bb.42:                               ;   in Loop: Header=BB7_37 Depth=1
	s_andn2_saveexec_b64 s[18:19], s[18:19]
	s_cbranch_execz .LBB7_35
; %bb.43:                               ;   in Loop: Header=BB7_37 Depth=1
	ds_read_b32 v7, v5
	s_waitcnt lgkmcnt(0)
	v_fma_f32 v9, -v6, v7, v9
	s_branch .LBB7_35
.LBB7_44:
	s_and_b64 s[2:3], s[10:11], exec
	s_or_b64 exec, exec, s[6:7]
	s_and_saveexec_b64 s[4:5], s[0:1]
	s_cbranch_execz .LBB7_32
.LBB7_45:
	v_mad_u64_u32 v[5:6], s[0:1], v1, s33, v[4:5]
	v_mov_b32_e32 v0, s13
	v_ashrrev_i32_e32 v6, 31, v5
	v_lshlrev_b64 v[5:6], 2, v[5:6]
	v_add_co_u32_e32 v5, vcc, s12, v5
	v_addc_co_u32_e32 v6, vcc, v0, v6, vcc
	global_store_dword v[5:6], v9, off
	s_or_b64 exec, exec, s[4:5]
	v_cmp_eq_u32_e32 vcc, 0, v4
	s_and_b64 exec, exec, vcc
	s_cbranch_execz .LBB7_33
.LBB7_46:
	v_mov_b32_e32 v0, s15
	v_add_co_u32_e32 v2, vcc, s14, v2
	v_addc_co_u32_e32 v3, vcc, v0, v3, vcc
	v_mov_b32_e32 v0, 1
	s_waitcnt vmcnt(0) lgkmcnt(0)
	global_store_dword v[2:3], v0, off
	s_and_b64 exec, exec, s[2:3]
	s_cbranch_execz .LBB7_33
; %bb.47:
	s_mov_b64 s[0:1], exec
	v_add_u32_e32 v0, s8, v1
	s_brev_b32 s2, -2
.LBB7_48:                               ; =>This Inner Loop Header: Depth=1
	s_ff1_i32_b64 s3, s[0:1]
	v_readlane_b32 s6, v0, s3
	s_lshl_b64 s[4:5], 1, s3
	s_min_i32 s2, s2, s6
	s_andn2_b64 s[0:1], s[0:1], s[4:5]
	s_cmp_lg_u64 s[0:1], 0
	s_cbranch_scc1 .LBB7_48
; %bb.49:
	v_mbcnt_lo_u32_b32 v0, exec_lo, 0
	v_mbcnt_hi_u32_b32 v0, exec_hi, v0
	v_cmp_eq_u32_e32 vcc, 0, v0
	s_and_saveexec_b64 s[0:1], vcc
	s_xor_b64 s[0:1], exec, s[0:1]
	s_cbranch_execz .LBB7_33
; %bb.50:
	v_mov_b32_e32 v0, 0
	v_mov_b32_e32 v1, s2
	global_atomic_smin v0, v1, s[20:21]
	s_endpgm
	.section	.rodata,"a",@progbits
	.p2align	6, 0x0
	.amdhsa_kernel _ZN9rocsparseL18bsrsv_lower_sharedILj128ELj64ELi16ELb1EfEEviNS_24const_host_device_scalarIT3_EEPKiS5_PKS2_iS7_PS2_PiS9_S9_21rocsparse_index_base_20rocsparse_diag_type_20rocsparse_direction_b
		.amdhsa_group_segment_fixed_size 2176
		.amdhsa_private_segment_fixed_size 0
		.amdhsa_kernarg_size 104
		.amdhsa_user_sgpr_count 6
		.amdhsa_user_sgpr_private_segment_buffer 1
		.amdhsa_user_sgpr_dispatch_ptr 0
		.amdhsa_user_sgpr_queue_ptr 0
		.amdhsa_user_sgpr_kernarg_segment_ptr 1
		.amdhsa_user_sgpr_dispatch_id 0
		.amdhsa_user_sgpr_flat_scratch_init 0
		.amdhsa_user_sgpr_private_segment_size 0
		.amdhsa_uses_dynamic_stack 0
		.amdhsa_system_sgpr_private_segment_wavefront_offset 0
		.amdhsa_system_sgpr_workgroup_id_x 1
		.amdhsa_system_sgpr_workgroup_id_y 0
		.amdhsa_system_sgpr_workgroup_id_z 0
		.amdhsa_system_sgpr_workgroup_info 0
		.amdhsa_system_vgpr_workitem_id 0
		.amdhsa_next_free_vgpr 39
		.amdhsa_next_free_sgpr 61
		.amdhsa_reserve_vcc 1
		.amdhsa_reserve_flat_scratch 0
		.amdhsa_float_round_mode_32 0
		.amdhsa_float_round_mode_16_64 0
		.amdhsa_float_denorm_mode_32 3
		.amdhsa_float_denorm_mode_16_64 3
		.amdhsa_dx10_clamp 1
		.amdhsa_ieee_mode 1
		.amdhsa_fp16_overflow 0
		.amdhsa_exception_fp_ieee_invalid_op 0
		.amdhsa_exception_fp_denorm_src 0
		.amdhsa_exception_fp_ieee_div_zero 0
		.amdhsa_exception_fp_ieee_overflow 0
		.amdhsa_exception_fp_ieee_underflow 0
		.amdhsa_exception_fp_ieee_inexact 0
		.amdhsa_exception_int_div_zero 0
	.end_amdhsa_kernel
	.section	.text._ZN9rocsparseL18bsrsv_lower_sharedILj128ELj64ELi16ELb1EfEEviNS_24const_host_device_scalarIT3_EEPKiS5_PKS2_iS7_PS2_PiS9_S9_21rocsparse_index_base_20rocsparse_diag_type_20rocsparse_direction_b,"axG",@progbits,_ZN9rocsparseL18bsrsv_lower_sharedILj128ELj64ELi16ELb1EfEEviNS_24const_host_device_scalarIT3_EEPKiS5_PKS2_iS7_PS2_PiS9_S9_21rocsparse_index_base_20rocsparse_diag_type_20rocsparse_direction_b,comdat
.Lfunc_end7:
	.size	_ZN9rocsparseL18bsrsv_lower_sharedILj128ELj64ELi16ELb1EfEEviNS_24const_host_device_scalarIT3_EEPKiS5_PKS2_iS7_PS2_PiS9_S9_21rocsparse_index_base_20rocsparse_diag_type_20rocsparse_direction_b, .Lfunc_end7-_ZN9rocsparseL18bsrsv_lower_sharedILj128ELj64ELi16ELb1EfEEviNS_24const_host_device_scalarIT3_EEPKiS5_PKS2_iS7_PS2_PiS9_S9_21rocsparse_index_base_20rocsparse_diag_type_20rocsparse_direction_b
                                        ; -- End function
	.set _ZN9rocsparseL18bsrsv_lower_sharedILj128ELj64ELi16ELb1EfEEviNS_24const_host_device_scalarIT3_EEPKiS5_PKS2_iS7_PS2_PiS9_S9_21rocsparse_index_base_20rocsparse_diag_type_20rocsparse_direction_b.num_vgpr, 39
	.set _ZN9rocsparseL18bsrsv_lower_sharedILj128ELj64ELi16ELb1EfEEviNS_24const_host_device_scalarIT3_EEPKiS5_PKS2_iS7_PS2_PiS9_S9_21rocsparse_index_base_20rocsparse_diag_type_20rocsparse_direction_b.num_agpr, 0
	.set _ZN9rocsparseL18bsrsv_lower_sharedILj128ELj64ELi16ELb1EfEEviNS_24const_host_device_scalarIT3_EEPKiS5_PKS2_iS7_PS2_PiS9_S9_21rocsparse_index_base_20rocsparse_diag_type_20rocsparse_direction_b.numbered_sgpr, 35
	.set _ZN9rocsparseL18bsrsv_lower_sharedILj128ELj64ELi16ELb1EfEEviNS_24const_host_device_scalarIT3_EEPKiS5_PKS2_iS7_PS2_PiS9_S9_21rocsparse_index_base_20rocsparse_diag_type_20rocsparse_direction_b.num_named_barrier, 0
	.set _ZN9rocsparseL18bsrsv_lower_sharedILj128ELj64ELi16ELb1EfEEviNS_24const_host_device_scalarIT3_EEPKiS5_PKS2_iS7_PS2_PiS9_S9_21rocsparse_index_base_20rocsparse_diag_type_20rocsparse_direction_b.private_seg_size, 0
	.set _ZN9rocsparseL18bsrsv_lower_sharedILj128ELj64ELi16ELb1EfEEviNS_24const_host_device_scalarIT3_EEPKiS5_PKS2_iS7_PS2_PiS9_S9_21rocsparse_index_base_20rocsparse_diag_type_20rocsparse_direction_b.uses_vcc, 1
	.set _ZN9rocsparseL18bsrsv_lower_sharedILj128ELj64ELi16ELb1EfEEviNS_24const_host_device_scalarIT3_EEPKiS5_PKS2_iS7_PS2_PiS9_S9_21rocsparse_index_base_20rocsparse_diag_type_20rocsparse_direction_b.uses_flat_scratch, 0
	.set _ZN9rocsparseL18bsrsv_lower_sharedILj128ELj64ELi16ELb1EfEEviNS_24const_host_device_scalarIT3_EEPKiS5_PKS2_iS7_PS2_PiS9_S9_21rocsparse_index_base_20rocsparse_diag_type_20rocsparse_direction_b.has_dyn_sized_stack, 0
	.set _ZN9rocsparseL18bsrsv_lower_sharedILj128ELj64ELi16ELb1EfEEviNS_24const_host_device_scalarIT3_EEPKiS5_PKS2_iS7_PS2_PiS9_S9_21rocsparse_index_base_20rocsparse_diag_type_20rocsparse_direction_b.has_recursion, 0
	.set _ZN9rocsparseL18bsrsv_lower_sharedILj128ELj64ELi16ELb1EfEEviNS_24const_host_device_scalarIT3_EEPKiS5_PKS2_iS7_PS2_PiS9_S9_21rocsparse_index_base_20rocsparse_diag_type_20rocsparse_direction_b.has_indirect_call, 0
	.section	.AMDGPU.csdata,"",@progbits
; Kernel info:
; codeLenInByte = 1772
; TotalNumSgprs: 39
; NumVgprs: 39
; ScratchSize: 0
; MemoryBound: 0
; FloatMode: 240
; IeeeMode: 1
; LDSByteSize: 2176 bytes/workgroup (compile time only)
; SGPRBlocks: 8
; VGPRBlocks: 9
; NumSGPRsForWavesPerEU: 65
; NumVGPRsForWavesPerEU: 39
; Occupancy: 6
; WaveLimiterHint : 1
; COMPUTE_PGM_RSRC2:SCRATCH_EN: 0
; COMPUTE_PGM_RSRC2:USER_SGPR: 6
; COMPUTE_PGM_RSRC2:TRAP_HANDLER: 0
; COMPUTE_PGM_RSRC2:TGID_X_EN: 1
; COMPUTE_PGM_RSRC2:TGID_Y_EN: 0
; COMPUTE_PGM_RSRC2:TGID_Z_EN: 0
; COMPUTE_PGM_RSRC2:TIDIG_COMP_CNT: 0
	.section	.text._ZN9rocsparseL18bsrsv_lower_sharedILj128ELj64ELi16ELb0EfEEviNS_24const_host_device_scalarIT3_EEPKiS5_PKS2_iS7_PS2_PiS9_S9_21rocsparse_index_base_20rocsparse_diag_type_20rocsparse_direction_b,"axG",@progbits,_ZN9rocsparseL18bsrsv_lower_sharedILj128ELj64ELi16ELb0EfEEviNS_24const_host_device_scalarIT3_EEPKiS5_PKS2_iS7_PS2_PiS9_S9_21rocsparse_index_base_20rocsparse_diag_type_20rocsparse_direction_b,comdat
	.globl	_ZN9rocsparseL18bsrsv_lower_sharedILj128ELj64ELi16ELb0EfEEviNS_24const_host_device_scalarIT3_EEPKiS5_PKS2_iS7_PS2_PiS9_S9_21rocsparse_index_base_20rocsparse_diag_type_20rocsparse_direction_b ; -- Begin function _ZN9rocsparseL18bsrsv_lower_sharedILj128ELj64ELi16ELb0EfEEviNS_24const_host_device_scalarIT3_EEPKiS5_PKS2_iS7_PS2_PiS9_S9_21rocsparse_index_base_20rocsparse_diag_type_20rocsparse_direction_b
	.p2align	8
	.type	_ZN9rocsparseL18bsrsv_lower_sharedILj128ELj64ELi16ELb0EfEEviNS_24const_host_device_scalarIT3_EEPKiS5_PKS2_iS7_PS2_PiS9_S9_21rocsparse_index_base_20rocsparse_diag_type_20rocsparse_direction_b,@function
_ZN9rocsparseL18bsrsv_lower_sharedILj128ELj64ELi16ELb0EfEEviNS_24const_host_device_scalarIT3_EEPKiS5_PKS2_iS7_PS2_PiS9_S9_21rocsparse_index_base_20rocsparse_diag_type_20rocsparse_direction_b: ; @_ZN9rocsparseL18bsrsv_lower_sharedILj128ELj64ELi16ELb0EfEEviNS_24const_host_device_scalarIT3_EEPKiS5_PKS2_iS7_PS2_PiS9_S9_21rocsparse_index_base_20rocsparse_diag_type_20rocsparse_direction_b
; %bb.0:
	s_load_dwordx4 s[8:11], s[4:5], 0x58
	s_load_dwordx2 s[2:3], s[4:5], 0x8
	s_waitcnt lgkmcnt(0)
	s_bitcmp1_b32 s11, 0
	s_cselect_b64 s[0:1], -1, 0
	s_and_b64 vcc, exec, s[0:1]
	s_cbranch_vccnz .LBB8_2
; %bb.1:
	s_load_dword s2, s[2:3], 0x0
.LBB8_2:
	s_nop 0
	s_load_dword s3, s[4:5], 0x0
	s_lshl_b32 s0, s6, 1
	v_lshrrev_b32_e32 v5, 6, v0
	s_and_b32 s0, s0, 0x3fffffe
	v_or_b32_e32 v1, s0, v5
	s_waitcnt lgkmcnt(0)
	v_cmp_gt_i32_e32 vcc, s3, v1
	s_and_saveexec_b64 s[0:1], vcc
	s_cbranch_execz .LBB8_31
; %bb.3:
	s_load_dwordx2 s[0:1], s[4:5], 0x48
	s_load_dwordx4 s[12:15], s[4:5], 0x38
	v_lshlrev_b32_e32 v1, 2, v1
	s_waitcnt lgkmcnt(0)
	global_load_dword v1, v1, s[0:1]
	s_load_dwordx2 s[0:1], s[4:5], 0x10
	s_load_dword s33, s[4:5], 0x28
	s_waitcnt lgkmcnt(0)
	v_mov_b32_e32 v4, s1
	s_waitcnt vmcnt(0)
	v_ashrrev_i32_e32 v2, 31, v1
	v_lshlrev_b64 v[2:3], 2, v[1:2]
	v_add_co_u32_e32 v6, vcc, s0, v2
	v_addc_co_u32_e32 v7, vcc, v4, v3, vcc
	global_load_dwordx2 v[7:8], v[6:7], off
	v_and_b32_e32 v4, 63, v0
	v_cmp_gt_i32_e64 s[0:1], s33, v4
	v_mov_b32_e32 v6, 0
	s_and_saveexec_b64 s[6:7], s[0:1]
	s_cbranch_execz .LBB8_5
; %bb.4:
	v_mad_u64_u32 v[9:10], s[16:17], v1, s33, v[4:5]
	s_load_dwordx2 s[16:17], s[4:5], 0x30
	v_ashrrev_i32_e32 v10, 31, v9
	v_lshlrev_b64 v[9:10], 2, v[9:10]
	s_waitcnt lgkmcnt(0)
	v_mov_b32_e32 v6, s17
	v_add_co_u32_e32 v9, vcc, s16, v9
	v_addc_co_u32_e32 v10, vcc, v6, v10, vcc
	global_load_dword v6, v[9:10], off
.LBB8_5:
	s_or_b64 exec, exec, s[6:7]
	s_load_dwordx2 s[20:21], s[4:5], 0x50
	s_waitcnt vmcnt(0)
	v_mul_f32_e32 v9, s2, v6
	v_lshlrev_b32_e32 v10, 10, v5
	v_cmp_lt_i32_e32 vcc, v7, v8
	v_mov_b32_e32 v6, s3
	s_and_saveexec_b64 s[22:23], vcc
	s_cbranch_execz .LBB8_28
; %bb.6:
	v_mov_b32_e32 v5, 0x800
	v_and_or_b32 v11, v0, 64, v5
	v_subrev_u32_e32 v5, s8, v7
	v_and_b32_e32 v0, 15, v0
	v_mad_u64_u32 v[6:7], s[6:7], s33, v5, v[0:1]
	s_load_dwordx4 s[16:19], s[4:5], 0x18
	v_lshrrev_b32_e32 v13, 4, v4
	v_mul_lo_u32 v16, s33, v6
	v_lshlrev_b32_e32 v7, 2, v4
	s_cmp_lg_u32 s10, 0
	v_add_u32_e32 v14, v11, v7
	v_add_u32_e32 v15, v10, v7
	v_lshlrev_b32_e32 v6, 6, v13
	v_lshlrev_b32_e32 v7, 2, v0
	v_subrev_u32_e32 v12, s8, v8
	v_cmp_gt_i32_e64 s[2:3], s33, v0
	s_cselect_b64 s[10:11], -1, 0
	v_cmp_gt_u32_e64 s[4:5], 16, v4
	s_mul_i32 s34, s33, s33
	v_add3_u32 v17, v10, v6, v7
	s_mov_b64 s[24:25], 0
	s_waitcnt lgkmcnt(0)
	v_mov_b32_e32 v18, s17
	s_branch .LBB8_9
.LBB8_7:                                ;   in Loop: Header=BB8_9 Depth=1
	s_or_b64 exec, exec, s[6:7]
.LBB8_8:                                ;   in Loop: Header=BB8_9 Depth=1
	s_or_b64 exec, exec, s[26:27]
	v_add_u32_e32 v5, 1, v5
	v_cmp_ge_i32_e64 s[6:7], v5, v12
	s_xor_b64 s[26:27], vcc, -1
	s_or_b64 s[6:7], s[26:27], s[6:7]
	s_and_b64 s[6:7], exec, s[6:7]
	s_or_b64 s[24:25], s[6:7], s[24:25]
	v_add_u32_e32 v16, s34, v16
	s_andn2_b64 exec, exec, s[24:25]
	s_cbranch_execz .LBB8_27
.LBB8_9:                                ; =>This Loop Header: Depth=1
                                        ;     Child Loop BB8_12 Depth 2
                                        ;     Child Loop BB8_20 Depth 2
	v_ashrrev_i32_e32 v6, 31, v5
	v_lshlrev_b64 v[6:7], 2, v[5:6]
	v_mul_lo_u32 v19, v5, s33
	v_add_co_u32_e32 v6, vcc, s16, v6
	v_addc_co_u32_e32 v7, vcc, v18, v7, vcc
	global_load_dword v8, v[6:7], off
	s_mov_b64 s[6:7], 0
	v_mov_b32_e32 v20, v17
	v_mov_b32_e32 v21, v13
	s_branch .LBB8_12
.LBB8_10:                               ;   in Loop: Header=BB8_12 Depth=2
	v_ashrrev_i32_e32 v7, 31, v6
	v_lshlrev_b64 v[6:7], 2, v[6:7]
	v_mov_b32_e32 v22, s19
	v_add_co_u32_e32 v6, vcc, s18, v6
	v_addc_co_u32_e32 v7, vcc, v22, v7, vcc
	global_load_dword v6, v[6:7], off
.LBB8_11:                               ;   in Loop: Header=BB8_12 Depth=2
	s_or_b64 exec, exec, s[26:27]
	s_waitcnt vmcnt(0)
	ds_write_b32 v20, v6
	v_add_u32_e32 v6, 4, v21
	v_cmp_lt_u32_e32 vcc, 11, v21
	v_add_u32_e32 v20, 0x100, v20
	s_or_b64 s[6:7], vcc, s[6:7]
	v_mov_b32_e32 v21, v6
	s_andn2_b64 exec, exec, s[6:7]
	s_cbranch_execz .LBB8_17
.LBB8_12:                               ;   Parent Loop BB8_9 Depth=1
                                        ; =>  This Inner Loop Header: Depth=2
	v_cmp_gt_i32_e32 vcc, s33, v21
	s_and_b64 s[28:29], s[2:3], vcc
	v_mov_b32_e32 v6, 0
	s_and_saveexec_b64 s[26:27], s[28:29]
	s_cbranch_execz .LBB8_11
; %bb.13:                               ;   in Loop: Header=BB8_12 Depth=2
	s_and_b64 vcc, exec, s[10:11]
	s_cbranch_vccz .LBB8_15
; %bb.14:                               ;   in Loop: Header=BB8_12 Depth=2
	v_add_u32_e32 v6, v21, v19
	v_mad_u64_u32 v[6:7], s[28:29], v6, s33, v[0:1]
	s_cbranch_execnz .LBB8_10
	s_branch .LBB8_16
.LBB8_15:                               ;   in Loop: Header=BB8_12 Depth=2
                                        ; implicit-def: $vgpr6
.LBB8_16:                               ;   in Loop: Header=BB8_12 Depth=2
	v_add_u32_e32 v6, v16, v21
	s_branch .LBB8_10
.LBB8_17:                               ;   in Loop: Header=BB8_9 Depth=1
	s_or_b64 exec, exec, s[6:7]
	v_subrev_u32_e32 v6, s8, v8
	v_cmp_lt_i32_e32 vcc, v6, v1
	s_and_saveexec_b64 s[26:27], vcc
	s_cbranch_execz .LBB8_8
; %bb.18:                               ;   in Loop: Header=BB8_9 Depth=1
	v_ashrrev_i32_e32 v7, 31, v6
	v_lshlrev_b64 v[7:8], 2, v[6:7]
	v_mov_b32_e32 v19, s15
	v_add_co_u32_e64 v7, s[6:7], s14, v7
	v_addc_co_u32_e64 v8, s[6:7], v19, v8, s[6:7]
	global_load_dword v19, v[7:8], off glc
	s_waitcnt vmcnt(0)
	v_cmp_eq_u32_e64 s[6:7], 0, v19
	s_and_saveexec_b64 s[28:29], s[6:7]
	s_cbranch_execz .LBB8_21
; %bb.19:                               ;   in Loop: Header=BB8_9 Depth=1
	s_mov_b64 s[30:31], 0
.LBB8_20:                               ;   Parent Loop BB8_9 Depth=1
                                        ; =>  This Inner Loop Header: Depth=2
	global_load_dword v19, v[7:8], off glc
	s_waitcnt vmcnt(0)
	v_cmp_ne_u32_e64 s[6:7], 0, v19
	s_or_b64 s[30:31], s[6:7], s[30:31]
	s_andn2_b64 exec, exec, s[30:31]
	s_cbranch_execnz .LBB8_20
.LBB8_21:                               ;   in Loop: Header=BB8_9 Depth=1
	s_or_b64 exec, exec, s[28:29]
	s_waitcnt lgkmcnt(0)
	buffer_wbinvl1_vol
	s_and_saveexec_b64 s[28:29], s[4:5]
	s_cbranch_execz .LBB8_25
; %bb.22:                               ;   in Loop: Header=BB8_9 Depth=1
	v_mov_b32_e32 v7, 0
	s_and_saveexec_b64 s[30:31], s[0:1]
	s_cbranch_execz .LBB8_24
; %bb.23:                               ;   in Loop: Header=BB8_9 Depth=1
	v_mad_u64_u32 v[7:8], s[6:7], v6, s33, v[4:5]
	v_mov_b32_e32 v19, s13
	v_ashrrev_i32_e32 v8, 31, v7
	v_lshlrev_b64 v[7:8], 2, v[7:8]
	v_add_co_u32_e64 v7, s[6:7], s12, v7
	v_addc_co_u32_e64 v8, s[6:7], v19, v8, s[6:7]
	global_load_dword v7, v[7:8], off
.LBB8_24:                               ;   in Loop: Header=BB8_9 Depth=1
	s_or_b64 exec, exec, s[30:31]
	s_waitcnt vmcnt(0)
	ds_write_b32 v14, v7
.LBB8_25:                               ;   in Loop: Header=BB8_9 Depth=1
	s_or_b64 exec, exec, s[28:29]
	s_waitcnt lgkmcnt(0)
	s_and_saveexec_b64 s[6:7], s[0:1]
	s_cbranch_execz .LBB8_7
; %bb.26:                               ;   in Loop: Header=BB8_9 Depth=1
	ds_read2_b32 v[7:8], v15 offset1:16
	ds_read_b128 v[19:22], v11
	ds_read_b128 v[23:26], v11 offset:16
	ds_read2_b32 v[35:36], v15 offset0:32 offset1:48
	ds_read_b128 v[27:30], v11 offset:32
	ds_read_b128 v[31:34], v11 offset:48
	s_waitcnt lgkmcnt(4)
	v_fma_f32 v7, -v7, v19, v9
	ds_read2_b32 v[37:38], v15 offset0:64 offset1:80
	v_fma_f32 v7, -v8, v20, v7
	s_waitcnt lgkmcnt(3)
	v_fma_f32 v9, -v35, v21, v7
	ds_read2_b32 v[7:8], v15 offset0:96 offset1:112
	v_fma_f32 v9, -v36, v22, v9
	s_waitcnt lgkmcnt(1)
	v_fma_f32 v9, -v37, v23, v9
	ds_read2_b32 v[19:20], v15 offset0:128 offset1:144
	v_fma_f32 v9, -v38, v24, v9
	s_waitcnt lgkmcnt(1)
	v_fma_f32 v7, -v7, v25, v9
	v_fma_f32 v9, -v8, v26, v7
	ds_read2_b32 v[7:8], v15 offset0:160 offset1:176
	ds_read2_b32 v[21:22], v15 offset0:192 offset1:208
	s_waitcnt lgkmcnt(2)
	v_fma_f32 v9, -v19, v27, v9
	v_fma_f32 v9, -v20, v28, v9
	ds_read2_b32 v[19:20], v15 offset0:224 offset1:240
	s_waitcnt lgkmcnt(2)
	v_fma_f32 v7, -v7, v29, v9
	v_fma_f32 v7, -v8, v30, v7
	s_waitcnt lgkmcnt(1)
	v_fma_f32 v7, -v21, v31, v7
	v_fma_f32 v7, -v22, v32, v7
	;; [unrolled: 3-line block ×3, first 2 shown]
	s_branch .LBB8_7
.LBB8_27:
	s_or_b64 exec, exec, s[24:25]
.LBB8_28:
	s_or_b64 exec, exec, s[22:23]
	s_cmp_gt_i32 s33, 0
	v_cmp_eq_u32_e32 vcc, v6, v1
	s_cselect_b64 s[2:3], -1, 0
	s_mov_b32 s22, 0
	s_and_b64 s[4:5], s[2:3], vcc
	s_mov_b64 s[2:3], 0
	s_and_saveexec_b64 s[6:7], s[4:5]
	s_cbranch_execnz .LBB8_32
; %bb.29:
	s_or_b64 exec, exec, s[6:7]
	s_and_saveexec_b64 s[4:5], s[0:1]
	s_cbranch_execnz .LBB8_43
.LBB8_30:
	s_or_b64 exec, exec, s[4:5]
	v_cmp_eq_u32_e32 vcc, 0, v4
	s_and_b64 exec, exec, vcc
	s_cbranch_execnz .LBB8_44
.LBB8_31:
	s_endpgm
.LBB8_32:
	s_cmp_eq_u32 s9, 0
	v_mbcnt_lo_u32_b32 v0, -1, 0
	s_cselect_b64 s[2:3], -1, 0
	v_mbcnt_hi_u32_b32 v0, -1, v0
	v_cndmask_b32_e64 v6, 0, 1, s[2:3]
	v_and_b32_e32 v0, 64, v0
	v_lshl_add_u32 v5, v4, 2, v10
	s_mov_b64 s[10:11], 0
	v_cmp_ne_u32_e64 s[2:3], 1, v6
	s_branch .LBB8_35
.LBB8_33:                               ;   in Loop: Header=BB8_35 Depth=1
	s_or_b64 exec, exec, s[18:19]
.LBB8_34:                               ;   in Loop: Header=BB8_35 Depth=1
	s_or_b64 exec, exec, s[16:17]
	s_or_b64 s[10:11], s[4:5], s[10:11]
	s_add_i32 s22, s22, 1
	v_add_u32_e32 v5, 64, v5
	s_cmp_lg_u32 s33, s22
	v_add_u32_e32 v10, 0x44, v10
	s_cbranch_scc0 .LBB8_42
.LBB8_35:                               ; =>This Inner Loop Header: Depth=1
	s_and_b64 vcc, exec, s[2:3]
	v_mov_b32_e32 v6, 1.0
	s_cbranch_vccnz .LBB8_37
; %bb.36:                               ;   in Loop: Header=BB8_35 Depth=1
	ds_read_b32 v6, v10
.LBB8_37:                               ;   in Loop: Header=BB8_35 Depth=1
	v_and_or_b32 v7, s22, 63, v0
	v_lshlrev_b32_e32 v7, 2, v7
	ds_bpermute_b32 v7, v7, v9
	s_waitcnt lgkmcnt(0)
	v_cmp_eq_f32_e64 s[4:5], 0, v6
	s_and_saveexec_b64 s[16:17], s[0:1]
	s_cbranch_execz .LBB8_34
; %bb.38:                               ;   in Loop: Header=BB8_35 Depth=1
	v_div_scale_f32 v8, s[18:19], v6, v6, v7
	v_div_scale_f32 v11, vcc, v7, v6, v7
	v_rcp_f32_e32 v12, v8
	v_fma_f32 v13, -v8, v12, 1.0
	v_fmac_f32_e32 v12, v13, v12
	v_mul_f32_e32 v13, v11, v12
	v_fma_f32 v14, -v8, v13, v11
	v_fmac_f32_e32 v13, v14, v12
	v_fma_f32 v8, -v8, v13, v11
	v_div_fmas_f32 v8, v8, v12, v13
	v_cmp_ge_u32_e32 vcc, s22, v4
	v_div_fixup_f32 v6, v8, v6, v7
	v_cndmask_b32_e64 v6, v6, v7, s[4:5]
	s_and_saveexec_b64 s[18:19], vcc
	s_xor_b64 s[18:19], exec, s[18:19]
; %bb.39:                               ;   in Loop: Header=BB8_35 Depth=1
	v_cmp_eq_u32_e32 vcc, s22, v4
	v_cndmask_b32_e32 v9, v9, v6, vcc
                                        ; implicit-def: $vgpr6
; %bb.40:                               ;   in Loop: Header=BB8_35 Depth=1
	s_andn2_saveexec_b64 s[18:19], s[18:19]
	s_cbranch_execz .LBB8_33
; %bb.41:                               ;   in Loop: Header=BB8_35 Depth=1
	ds_read_b32 v7, v5
	s_waitcnt lgkmcnt(0)
	v_fma_f32 v9, -v6, v7, v9
	s_branch .LBB8_33
.LBB8_42:
	s_and_b64 s[2:3], s[10:11], exec
	s_or_b64 exec, exec, s[6:7]
	s_and_saveexec_b64 s[4:5], s[0:1]
	s_cbranch_execz .LBB8_30
.LBB8_43:
	v_mad_u64_u32 v[5:6], s[0:1], v1, s33, v[4:5]
	v_mov_b32_e32 v0, s13
	v_ashrrev_i32_e32 v6, 31, v5
	v_lshlrev_b64 v[5:6], 2, v[5:6]
	v_add_co_u32_e32 v5, vcc, s12, v5
	v_addc_co_u32_e32 v6, vcc, v0, v6, vcc
	global_store_dword v[5:6], v9, off
	s_or_b64 exec, exec, s[4:5]
	v_cmp_eq_u32_e32 vcc, 0, v4
	s_and_b64 exec, exec, vcc
	s_cbranch_execz .LBB8_31
.LBB8_44:
	v_mov_b32_e32 v0, s15
	v_add_co_u32_e32 v2, vcc, s14, v2
	v_addc_co_u32_e32 v3, vcc, v0, v3, vcc
	v_mov_b32_e32 v0, 1
	s_waitcnt vmcnt(0) lgkmcnt(0)
	global_store_dword v[2:3], v0, off
	s_and_b64 exec, exec, s[2:3]
	s_cbranch_execz .LBB8_31
; %bb.45:
	s_mov_b64 s[0:1], exec
	v_add_u32_e32 v0, s8, v1
	s_brev_b32 s2, -2
.LBB8_46:                               ; =>This Inner Loop Header: Depth=1
	s_ff1_i32_b64 s3, s[0:1]
	v_readlane_b32 s6, v0, s3
	s_lshl_b64 s[4:5], 1, s3
	s_min_i32 s2, s2, s6
	s_andn2_b64 s[0:1], s[0:1], s[4:5]
	s_cmp_lg_u64 s[0:1], 0
	s_cbranch_scc1 .LBB8_46
; %bb.47:
	v_mbcnt_lo_u32_b32 v0, exec_lo, 0
	v_mbcnt_hi_u32_b32 v0, exec_hi, v0
	v_cmp_eq_u32_e32 vcc, 0, v0
	s_and_saveexec_b64 s[0:1], vcc
	s_xor_b64 s[0:1], exec, s[0:1]
	s_cbranch_execz .LBB8_31
; %bb.48:
	v_mov_b32_e32 v0, 0
	v_mov_b32_e32 v1, s2
	global_atomic_smin v0, v1, s[20:21]
	s_endpgm
	.section	.rodata,"a",@progbits
	.p2align	6, 0x0
	.amdhsa_kernel _ZN9rocsparseL18bsrsv_lower_sharedILj128ELj64ELi16ELb0EfEEviNS_24const_host_device_scalarIT3_EEPKiS5_PKS2_iS7_PS2_PiS9_S9_21rocsparse_index_base_20rocsparse_diag_type_20rocsparse_direction_b
		.amdhsa_group_segment_fixed_size 2176
		.amdhsa_private_segment_fixed_size 0
		.amdhsa_kernarg_size 104
		.amdhsa_user_sgpr_count 6
		.amdhsa_user_sgpr_private_segment_buffer 1
		.amdhsa_user_sgpr_dispatch_ptr 0
		.amdhsa_user_sgpr_queue_ptr 0
		.amdhsa_user_sgpr_kernarg_segment_ptr 1
		.amdhsa_user_sgpr_dispatch_id 0
		.amdhsa_user_sgpr_flat_scratch_init 0
		.amdhsa_user_sgpr_private_segment_size 0
		.amdhsa_uses_dynamic_stack 0
		.amdhsa_system_sgpr_private_segment_wavefront_offset 0
		.amdhsa_system_sgpr_workgroup_id_x 1
		.amdhsa_system_sgpr_workgroup_id_y 0
		.amdhsa_system_sgpr_workgroup_id_z 0
		.amdhsa_system_sgpr_workgroup_info 0
		.amdhsa_system_vgpr_workitem_id 0
		.amdhsa_next_free_vgpr 39
		.amdhsa_next_free_sgpr 61
		.amdhsa_reserve_vcc 1
		.amdhsa_reserve_flat_scratch 0
		.amdhsa_float_round_mode_32 0
		.amdhsa_float_round_mode_16_64 0
		.amdhsa_float_denorm_mode_32 3
		.amdhsa_float_denorm_mode_16_64 3
		.amdhsa_dx10_clamp 1
		.amdhsa_ieee_mode 1
		.amdhsa_fp16_overflow 0
		.amdhsa_exception_fp_ieee_invalid_op 0
		.amdhsa_exception_fp_denorm_src 0
		.amdhsa_exception_fp_ieee_div_zero 0
		.amdhsa_exception_fp_ieee_overflow 0
		.amdhsa_exception_fp_ieee_underflow 0
		.amdhsa_exception_fp_ieee_inexact 0
		.amdhsa_exception_int_div_zero 0
	.end_amdhsa_kernel
	.section	.text._ZN9rocsparseL18bsrsv_lower_sharedILj128ELj64ELi16ELb0EfEEviNS_24const_host_device_scalarIT3_EEPKiS5_PKS2_iS7_PS2_PiS9_S9_21rocsparse_index_base_20rocsparse_diag_type_20rocsparse_direction_b,"axG",@progbits,_ZN9rocsparseL18bsrsv_lower_sharedILj128ELj64ELi16ELb0EfEEviNS_24const_host_device_scalarIT3_EEPKiS5_PKS2_iS7_PS2_PiS9_S9_21rocsparse_index_base_20rocsparse_diag_type_20rocsparse_direction_b,comdat
.Lfunc_end8:
	.size	_ZN9rocsparseL18bsrsv_lower_sharedILj128ELj64ELi16ELb0EfEEviNS_24const_host_device_scalarIT3_EEPKiS5_PKS2_iS7_PS2_PiS9_S9_21rocsparse_index_base_20rocsparse_diag_type_20rocsparse_direction_b, .Lfunc_end8-_ZN9rocsparseL18bsrsv_lower_sharedILj128ELj64ELi16ELb0EfEEviNS_24const_host_device_scalarIT3_EEPKiS5_PKS2_iS7_PS2_PiS9_S9_21rocsparse_index_base_20rocsparse_diag_type_20rocsparse_direction_b
                                        ; -- End function
	.set _ZN9rocsparseL18bsrsv_lower_sharedILj128ELj64ELi16ELb0EfEEviNS_24const_host_device_scalarIT3_EEPKiS5_PKS2_iS7_PS2_PiS9_S9_21rocsparse_index_base_20rocsparse_diag_type_20rocsparse_direction_b.num_vgpr, 39
	.set _ZN9rocsparseL18bsrsv_lower_sharedILj128ELj64ELi16ELb0EfEEviNS_24const_host_device_scalarIT3_EEPKiS5_PKS2_iS7_PS2_PiS9_S9_21rocsparse_index_base_20rocsparse_diag_type_20rocsparse_direction_b.num_agpr, 0
	.set _ZN9rocsparseL18bsrsv_lower_sharedILj128ELj64ELi16ELb0EfEEviNS_24const_host_device_scalarIT3_EEPKiS5_PKS2_iS7_PS2_PiS9_S9_21rocsparse_index_base_20rocsparse_diag_type_20rocsparse_direction_b.numbered_sgpr, 35
	.set _ZN9rocsparseL18bsrsv_lower_sharedILj128ELj64ELi16ELb0EfEEviNS_24const_host_device_scalarIT3_EEPKiS5_PKS2_iS7_PS2_PiS9_S9_21rocsparse_index_base_20rocsparse_diag_type_20rocsparse_direction_b.num_named_barrier, 0
	.set _ZN9rocsparseL18bsrsv_lower_sharedILj128ELj64ELi16ELb0EfEEviNS_24const_host_device_scalarIT3_EEPKiS5_PKS2_iS7_PS2_PiS9_S9_21rocsparse_index_base_20rocsparse_diag_type_20rocsparse_direction_b.private_seg_size, 0
	.set _ZN9rocsparseL18bsrsv_lower_sharedILj128ELj64ELi16ELb0EfEEviNS_24const_host_device_scalarIT3_EEPKiS5_PKS2_iS7_PS2_PiS9_S9_21rocsparse_index_base_20rocsparse_diag_type_20rocsparse_direction_b.uses_vcc, 1
	.set _ZN9rocsparseL18bsrsv_lower_sharedILj128ELj64ELi16ELb0EfEEviNS_24const_host_device_scalarIT3_EEPKiS5_PKS2_iS7_PS2_PiS9_S9_21rocsparse_index_base_20rocsparse_diag_type_20rocsparse_direction_b.uses_flat_scratch, 0
	.set _ZN9rocsparseL18bsrsv_lower_sharedILj128ELj64ELi16ELb0EfEEviNS_24const_host_device_scalarIT3_EEPKiS5_PKS2_iS7_PS2_PiS9_S9_21rocsparse_index_base_20rocsparse_diag_type_20rocsparse_direction_b.has_dyn_sized_stack, 0
	.set _ZN9rocsparseL18bsrsv_lower_sharedILj128ELj64ELi16ELb0EfEEviNS_24const_host_device_scalarIT3_EEPKiS5_PKS2_iS7_PS2_PiS9_S9_21rocsparse_index_base_20rocsparse_diag_type_20rocsparse_direction_b.has_recursion, 0
	.set _ZN9rocsparseL18bsrsv_lower_sharedILj128ELj64ELi16ELb0EfEEviNS_24const_host_device_scalarIT3_EEPKiS5_PKS2_iS7_PS2_PiS9_S9_21rocsparse_index_base_20rocsparse_diag_type_20rocsparse_direction_b.has_indirect_call, 0
	.section	.AMDGPU.csdata,"",@progbits
; Kernel info:
; codeLenInByte = 1716
; TotalNumSgprs: 39
; NumVgprs: 39
; ScratchSize: 0
; MemoryBound: 0
; FloatMode: 240
; IeeeMode: 1
; LDSByteSize: 2176 bytes/workgroup (compile time only)
; SGPRBlocks: 8
; VGPRBlocks: 9
; NumSGPRsForWavesPerEU: 65
; NumVGPRsForWavesPerEU: 39
; Occupancy: 6
; WaveLimiterHint : 1
; COMPUTE_PGM_RSRC2:SCRATCH_EN: 0
; COMPUTE_PGM_RSRC2:USER_SGPR: 6
; COMPUTE_PGM_RSRC2:TRAP_HANDLER: 0
; COMPUTE_PGM_RSRC2:TGID_X_EN: 1
; COMPUTE_PGM_RSRC2:TGID_Y_EN: 0
; COMPUTE_PGM_RSRC2:TGID_Z_EN: 0
; COMPUTE_PGM_RSRC2:TIDIG_COMP_CNT: 0
	.section	.text._ZN9rocsparseL18bsrsv_upper_sharedILj128ELj64ELi16ELb1EfEEviNS_24const_host_device_scalarIT3_EEPKiS5_PKS2_iS7_PS2_PiS9_S9_21rocsparse_index_base_20rocsparse_diag_type_20rocsparse_direction_b,"axG",@progbits,_ZN9rocsparseL18bsrsv_upper_sharedILj128ELj64ELi16ELb1EfEEviNS_24const_host_device_scalarIT3_EEPKiS5_PKS2_iS7_PS2_PiS9_S9_21rocsparse_index_base_20rocsparse_diag_type_20rocsparse_direction_b,comdat
	.globl	_ZN9rocsparseL18bsrsv_upper_sharedILj128ELj64ELi16ELb1EfEEviNS_24const_host_device_scalarIT3_EEPKiS5_PKS2_iS7_PS2_PiS9_S9_21rocsparse_index_base_20rocsparse_diag_type_20rocsparse_direction_b ; -- Begin function _ZN9rocsparseL18bsrsv_upper_sharedILj128ELj64ELi16ELb1EfEEviNS_24const_host_device_scalarIT3_EEPKiS5_PKS2_iS7_PS2_PiS9_S9_21rocsparse_index_base_20rocsparse_diag_type_20rocsparse_direction_b
	.p2align	8
	.type	_ZN9rocsparseL18bsrsv_upper_sharedILj128ELj64ELi16ELb1EfEEviNS_24const_host_device_scalarIT3_EEPKiS5_PKS2_iS7_PS2_PiS9_S9_21rocsparse_index_base_20rocsparse_diag_type_20rocsparse_direction_b,@function
_ZN9rocsparseL18bsrsv_upper_sharedILj128ELj64ELi16ELb1EfEEviNS_24const_host_device_scalarIT3_EEPKiS5_PKS2_iS7_PS2_PiS9_S9_21rocsparse_index_base_20rocsparse_diag_type_20rocsparse_direction_b: ; @_ZN9rocsparseL18bsrsv_upper_sharedILj128ELj64ELi16ELb1EfEEviNS_24const_host_device_scalarIT3_EEPKiS5_PKS2_iS7_PS2_PiS9_S9_21rocsparse_index_base_20rocsparse_diag_type_20rocsparse_direction_b
; %bb.0:
	s_load_dwordx4 s[8:11], s[4:5], 0x58
	s_load_dwordx2 s[2:3], s[4:5], 0x8
	s_waitcnt lgkmcnt(0)
	s_bitcmp1_b32 s11, 0
	s_cselect_b64 s[0:1], -1, 0
	s_and_b64 vcc, exec, s[0:1]
	s_cbranch_vccnz .LBB9_2
; %bb.1:
	s_load_dword s2, s[2:3], 0x0
.LBB9_2:
	s_nop 0
	s_load_dword s3, s[4:5], 0x0
	s_lshl_b32 s0, s6, 1
	v_lshrrev_b32_e32 v7, 6, v0
	s_and_b32 s0, s0, 0x3fffffe
	v_or_b32_e32 v1, s0, v7
	s_waitcnt lgkmcnt(0)
	v_cmp_gt_i32_e32 vcc, s3, v1
	s_and_saveexec_b64 s[0:1], vcc
	s_cbranch_execz .LBB9_33
; %bb.3:
	s_load_dwordx2 s[0:1], s[4:5], 0x48
	s_load_dwordx4 s[12:15], s[4:5], 0x38
	v_lshlrev_b32_e32 v1, 2, v1
	v_mov_b32_e32 v8, 0
	s_waitcnt lgkmcnt(0)
	global_load_dword v1, v1, s[0:1]
	s_load_dwordx2 s[0:1], s[4:5], 0x10
	s_load_dword s33, s[4:5], 0x28
	s_waitcnt lgkmcnt(0)
	v_mov_b32_e32 v5, s1
	s_waitcnt vmcnt(0)
	v_ashrrev_i32_e32 v2, 31, v1
	v_lshlrev_b64 v[2:3], 2, v[1:2]
	v_add_co_u32_e32 v4, vcc, s0, v2
	v_addc_co_u32_e32 v5, vcc, v5, v3, vcc
	global_load_dwordx2 v[5:6], v[4:5], off
	v_and_b32_e32 v4, 63, v0
	v_cmp_gt_i32_e64 s[0:1], s33, v4
	s_and_saveexec_b64 s[6:7], s[0:1]
	s_cbranch_execz .LBB9_5
; %bb.4:
	s_waitcnt vmcnt(0)
	v_mad_u64_u32 v[8:9], s[16:17], v1, s33, v[4:5]
	s_load_dwordx2 s[16:17], s[4:5], 0x30
	v_ashrrev_i32_e32 v9, 31, v8
	v_lshlrev_b64 v[8:9], 2, v[8:9]
	s_waitcnt lgkmcnt(0)
	v_mov_b32_e32 v10, s17
	v_add_co_u32_e32 v8, vcc, s16, v8
	v_addc_co_u32_e32 v9, vcc, v10, v9, vcc
	global_load_dword v8, v[8:9], off
.LBB9_5:
	s_or_b64 exec, exec, s[6:7]
	s_load_dwordx2 s[20:21], s[4:5], 0x50
	s_waitcnt vmcnt(0)
	v_subrev_u32_e32 v12, s8, v5
	v_xad_u32 v5, s8, -1, v6
	v_mul_f32_e32 v9, s2, v8
	v_lshlrev_b32_e32 v10, 10, v7
	v_cmp_ge_i32_e32 vcc, v5, v12
	v_mov_b32_e32 v6, s3
	v_lshlrev_b32_e32 v11, 2, v4
	s_and_saveexec_b64 s[22:23], vcc
	s_cbranch_execz .LBB9_30
; %bb.6:
	v_mov_b32_e32 v6, 0x800
	v_and_or_b32 v13, v0, 64, v6
	v_and_b32_e32 v0, 15, v0
	s_load_dwordx4 s[16:19], s[4:5], 0x18
	v_mad_u64_u32 v[6:7], s[4:5], s33, v5, v[0:1]
	v_lshrrev_b32_e32 v14, 4, v4
	s_cmp_lg_u32 s10, 0
	v_mul_lo_u32 v17, s33, v6
	v_lshlrev_b32_e32 v6, 6, v14
	v_lshlrev_b32_e32 v7, 2, v0
	v_cmp_gt_i32_e64 s[2:3], s33, v0
	s_cselect_b64 s[10:11], -1, 0
	v_cmp_gt_u32_e64 s[4:5], 16, v4
	v_add_u32_e32 v15, v13, v11
	v_add_u32_e32 v16, v10, v11
	s_mul_i32 s34, s33, s33
	v_add3_u32 v18, v10, v6, v7
	s_mov_b64 s[24:25], 0
	s_waitcnt lgkmcnt(0)
	v_mov_b32_e32 v19, s17
	s_branch .LBB9_9
.LBB9_7:                                ;   in Loop: Header=BB9_9 Depth=1
	s_or_b64 exec, exec, s[6:7]
.LBB9_8:                                ;   in Loop: Header=BB9_9 Depth=1
	s_or_b64 exec, exec, s[26:27]
	v_cmp_le_i32_e64 s[6:7], v5, v12
	s_xor_b64 s[26:27], vcc, -1
	s_or_b64 s[6:7], s[26:27], s[6:7]
	v_add_u32_e32 v7, -1, v5
	s_and_b64 s[6:7], exec, s[6:7]
	v_subrev_u32_e32 v17, s34, v17
	s_or_b64 s[24:25], s[6:7], s[24:25]
	v_mov_b32_e32 v5, v7
	s_andn2_b64 exec, exec, s[24:25]
	s_cbranch_execz .LBB9_29
.LBB9_9:                                ; =>This Loop Header: Depth=1
                                        ;     Child Loop BB9_12 Depth 2
                                        ;     Child Loop BB9_21 Depth 2
                                        ;       Child Loop BB9_22 Depth 3
	v_ashrrev_i32_e32 v6, 31, v5
	v_lshlrev_b64 v[6:7], 2, v[5:6]
	v_mul_lo_u32 v20, v5, s33
	v_add_co_u32_e32 v6, vcc, s16, v6
	v_addc_co_u32_e32 v7, vcc, v19, v7, vcc
	global_load_dword v8, v[6:7], off
	s_mov_b64 s[6:7], 0
	v_mov_b32_e32 v21, v18
	v_mov_b32_e32 v22, v14
	s_branch .LBB9_12
.LBB9_10:                               ;   in Loop: Header=BB9_12 Depth=2
	v_ashrrev_i32_e32 v7, 31, v6
	v_lshlrev_b64 v[6:7], 2, v[6:7]
	v_mov_b32_e32 v23, s19
	v_add_co_u32_e32 v6, vcc, s18, v6
	v_addc_co_u32_e32 v7, vcc, v23, v7, vcc
	global_load_dword v6, v[6:7], off
.LBB9_11:                               ;   in Loop: Header=BB9_12 Depth=2
	s_or_b64 exec, exec, s[26:27]
	s_waitcnt vmcnt(0)
	ds_write_b32 v21, v6
	v_add_u32_e32 v6, 4, v22
	v_cmp_lt_u32_e32 vcc, 11, v22
	v_add_u32_e32 v21, 0x100, v21
	s_or_b64 s[6:7], vcc, s[6:7]
	v_mov_b32_e32 v22, v6
	s_andn2_b64 exec, exec, s[6:7]
	s_cbranch_execz .LBB9_17
.LBB9_12:                               ;   Parent Loop BB9_9 Depth=1
                                        ; =>  This Inner Loop Header: Depth=2
	v_cmp_gt_i32_e32 vcc, s33, v22
	s_and_b64 s[28:29], s[2:3], vcc
	v_mov_b32_e32 v6, 0
	s_and_saveexec_b64 s[26:27], s[28:29]
	s_cbranch_execz .LBB9_11
; %bb.13:                               ;   in Loop: Header=BB9_12 Depth=2
	s_and_b64 vcc, exec, s[10:11]
	s_cbranch_vccz .LBB9_15
; %bb.14:                               ;   in Loop: Header=BB9_12 Depth=2
	v_add_u32_e32 v6, v22, v20
	v_mad_u64_u32 v[6:7], s[28:29], v6, s33, v[0:1]
	s_cbranch_execnz .LBB9_10
	s_branch .LBB9_16
.LBB9_15:                               ;   in Loop: Header=BB9_12 Depth=2
                                        ; implicit-def: $vgpr6
.LBB9_16:                               ;   in Loop: Header=BB9_12 Depth=2
	v_add_u32_e32 v6, v17, v22
	s_branch .LBB9_10
.LBB9_17:                               ;   in Loop: Header=BB9_9 Depth=1
	s_or_b64 exec, exec, s[6:7]
	v_subrev_u32_e32 v6, s8, v8
	v_cmp_gt_i32_e32 vcc, v6, v1
	s_and_saveexec_b64 s[26:27], vcc
	s_cbranch_execz .LBB9_8
; %bb.18:                               ;   in Loop: Header=BB9_9 Depth=1
	v_ashrrev_i32_e32 v7, 31, v6
	v_lshlrev_b64 v[7:8], 2, v[6:7]
	v_mov_b32_e32 v20, s15
	v_add_co_u32_e64 v7, s[6:7], s14, v7
	v_addc_co_u32_e64 v8, s[6:7], v20, v8, s[6:7]
	global_load_dword v20, v[7:8], off glc
	s_waitcnt vmcnt(0)
	v_cmp_eq_u32_e64 s[6:7], 0, v20
	s_and_saveexec_b64 s[28:29], s[6:7]
	s_cbranch_execz .LBB9_23
; %bb.19:                               ;   in Loop: Header=BB9_9 Depth=1
	s_mov_b32 s17, 0
	s_mov_b64 s[30:31], 0
	s_branch .LBB9_21
.LBB9_20:                               ;   in Loop: Header=BB9_21 Depth=2
	global_load_dword v20, v[7:8], off glc
	s_cmpk_lt_u32 s17, 0xf43
	s_cselect_b64 s[6:7], -1, 0
	s_cmp_lg_u64 s[6:7], 0
	s_addc_u32 s17, s17, 0
	s_waitcnt vmcnt(0)
	v_cmp_ne_u32_e64 s[6:7], 0, v20
	s_or_b64 s[30:31], s[6:7], s[30:31]
	s_andn2_b64 exec, exec, s[30:31]
	s_cbranch_execz .LBB9_23
.LBB9_21:                               ;   Parent Loop BB9_9 Depth=1
                                        ; =>  This Loop Header: Depth=2
                                        ;       Child Loop BB9_22 Depth 3
	s_cmp_eq_u32 s17, 0
	s_mov_b32 s6, s17
	s_cbranch_scc1 .LBB9_20
.LBB9_22:                               ;   Parent Loop BB9_9 Depth=1
                                        ;     Parent Loop BB9_21 Depth=2
                                        ; =>    This Inner Loop Header: Depth=3
	s_add_i32 s6, s6, -1
	s_cmp_eq_u32 s6, 0
	s_sleep 1
	s_cbranch_scc0 .LBB9_22
	s_branch .LBB9_20
.LBB9_23:                               ;   in Loop: Header=BB9_9 Depth=1
	s_or_b64 exec, exec, s[28:29]
	s_waitcnt lgkmcnt(0)
	buffer_wbinvl1_vol
	s_and_saveexec_b64 s[28:29], s[4:5]
	s_cbranch_execz .LBB9_27
; %bb.24:                               ;   in Loop: Header=BB9_9 Depth=1
	v_mov_b32_e32 v7, 0
	s_and_saveexec_b64 s[30:31], s[0:1]
	s_cbranch_execz .LBB9_26
; %bb.25:                               ;   in Loop: Header=BB9_9 Depth=1
	v_mad_u64_u32 v[7:8], s[6:7], v6, s33, v[4:5]
	v_mov_b32_e32 v20, s13
	v_ashrrev_i32_e32 v8, 31, v7
	v_lshlrev_b64 v[7:8], 2, v[7:8]
	v_add_co_u32_e64 v7, s[6:7], s12, v7
	v_addc_co_u32_e64 v8, s[6:7], v20, v8, s[6:7]
	global_load_dword v7, v[7:8], off
.LBB9_26:                               ;   in Loop: Header=BB9_9 Depth=1
	s_or_b64 exec, exec, s[30:31]
	s_waitcnt vmcnt(0)
	ds_write_b32 v15, v7
.LBB9_27:                               ;   in Loop: Header=BB9_9 Depth=1
	s_or_b64 exec, exec, s[28:29]
	s_waitcnt lgkmcnt(0)
	s_and_saveexec_b64 s[6:7], s[0:1]
	s_cbranch_execz .LBB9_7
; %bb.28:                               ;   in Loop: Header=BB9_9 Depth=1
	ds_read2_b32 v[7:8], v16 offset1:16
	ds_read_b128 v[20:23], v13
	ds_read_b128 v[24:27], v13 offset:16
	ds_read2_b32 v[36:37], v16 offset0:32 offset1:48
	ds_read_b128 v[28:31], v13 offset:32
	ds_read_b128 v[32:35], v13 offset:48
	s_waitcnt lgkmcnt(4)
	v_fma_f32 v7, -v7, v20, v9
	ds_read2_b32 v[38:39], v16 offset0:64 offset1:80
	v_fma_f32 v7, -v8, v21, v7
	s_waitcnt lgkmcnt(3)
	v_fma_f32 v9, -v36, v22, v7
	ds_read2_b32 v[7:8], v16 offset0:96 offset1:112
	v_fma_f32 v9, -v37, v23, v9
	;; [unrolled: 4-line block ×3, first 2 shown]
	s_waitcnt lgkmcnt(1)
	v_fma_f32 v7, -v7, v26, v9
	v_fma_f32 v9, -v8, v27, v7
	ds_read2_b32 v[7:8], v16 offset0:160 offset1:176
	ds_read2_b32 v[22:23], v16 offset0:192 offset1:208
	s_waitcnt lgkmcnt(2)
	v_fma_f32 v9, -v20, v28, v9
	v_fma_f32 v9, -v21, v29, v9
	ds_read2_b32 v[20:21], v16 offset0:224 offset1:240
	s_waitcnt lgkmcnt(2)
	v_fma_f32 v7, -v7, v30, v9
	v_fma_f32 v7, -v8, v31, v7
	s_waitcnt lgkmcnt(1)
	v_fma_f32 v7, -v22, v32, v7
	v_fma_f32 v7, -v23, v33, v7
	;; [unrolled: 3-line block ×3, first 2 shown]
	s_branch .LBB9_7
.LBB9_29:
	s_or_b64 exec, exec, s[24:25]
.LBB9_30:
	s_or_b64 exec, exec, s[22:23]
	s_cmp_gt_i32 s33, 0
	v_cmp_eq_u32_e32 vcc, v6, v1
	s_cselect_b64 s[2:3], -1, 0
	s_and_b64 s[4:5], s[2:3], vcc
	s_mov_b64 s[2:3], 0
	s_and_saveexec_b64 s[6:7], s[4:5]
	s_cbranch_execnz .LBB9_34
; %bb.31:
	s_or_b64 exec, exec, s[6:7]
	s_and_saveexec_b64 s[4:5], s[0:1]
	s_cbranch_execnz .LBB9_45
.LBB9_32:
	s_or_b64 exec, exec, s[4:5]
	v_cmp_eq_u32_e32 vcc, 0, v4
	s_and_b64 exec, exec, vcc
	s_cbranch_execnz .LBB9_46
.LBB9_33:
	s_endpgm
.LBB9_34:
	s_cmp_eq_u32 s9, 0
	v_lshl_add_u32 v5, s33, 6, v10
	s_movk_i32 s4, 0xffc0
	s_cselect_b64 s[2:3], -1, 0
	v_mbcnt_lo_u32_b32 v0, -1, 0
	v_add3_u32 v5, v5, v11, s4
	s_mul_i32 s4, s33, 0x44
	v_mbcnt_hi_u32_b32 v0, -1, v0
	v_add_u32_e32 v6, s4, v10
	v_cndmask_b32_e64 v7, 0, 1, s[2:3]
	v_and_b32_e32 v0, 64, v0
	s_add_i32 s9, s33, -1
	v_add_u32_e32 v6, 0xffffffbc, v6
	s_mov_b64 s[10:11], 0
	v_cmp_ne_u32_e64 s[2:3], 1, v7
	s_and_b64 vcc, exec, s[2:3]
	v_mov_b32_e32 v7, 1.0
	s_cbranch_vccnz .LBB9_36
.LBB9_35:
	ds_read_b32 v7, v6
.LBB9_36:                               ; =>This Inner Loop Header: Depth=1
	v_and_or_b32 v8, s9, 63, v0
	v_lshlrev_b32_e32 v8, 2, v8
	ds_bpermute_b32 v8, v8, v9
	s_waitcnt lgkmcnt(0)
	v_cmp_eq_f32_e64 s[4:5], 0, v7
	s_and_saveexec_b64 s[16:17], s[0:1]
	s_cbranch_execz .LBB9_42
; %bb.37:                               ;   in Loop: Header=BB9_36 Depth=1
	v_div_scale_f32 v10, s[18:19], v7, v7, v8
	v_div_scale_f32 v11, vcc, v8, v7, v8
	v_rcp_f32_e32 v12, v10
	v_fma_f32 v13, -v10, v12, 1.0
	v_fmac_f32_e32 v12, v13, v12
	v_mul_f32_e32 v13, v11, v12
	v_fma_f32 v14, -v10, v13, v11
	v_fmac_f32_e32 v13, v14, v12
	v_fma_f32 v10, -v10, v13, v11
	v_div_fmas_f32 v10, v10, v12, v13
	v_cmp_le_i32_e32 vcc, s9, v4
	v_div_fixup_f32 v7, v10, v7, v8
	v_cndmask_b32_e64 v7, v7, v8, s[4:5]
	s_and_saveexec_b64 s[18:19], vcc
	s_xor_b64 s[18:19], exec, s[18:19]
; %bb.38:                               ;   in Loop: Header=BB9_36 Depth=1
	v_cmp_eq_u32_e32 vcc, s9, v4
	v_cndmask_b32_e32 v9, v9, v7, vcc
                                        ; implicit-def: $vgpr7
; %bb.39:                               ;   in Loop: Header=BB9_36 Depth=1
	s_andn2_saveexec_b64 s[18:19], s[18:19]
	s_cbranch_execz .LBB9_41
; %bb.40:                               ;   in Loop: Header=BB9_36 Depth=1
	ds_read_b32 v8, v5
	s_waitcnt lgkmcnt(0)
	v_fma_f32 v9, -v7, v8, v9
.LBB9_41:                               ;   in Loop: Header=BB9_36 Depth=1
	s_or_b64 exec, exec, s[18:19]
.LBB9_42:                               ;   in Loop: Header=BB9_36 Depth=1
	s_or_b64 exec, exec, s[16:17]
	s_or_b64 s[10:11], s[4:5], s[10:11]
	s_add_i32 s4, s9, -1
	s_add_i32 s5, s9, 1
	v_subrev_u32_e32 v5, 64, v5
	s_cmp_gt_u32 s5, 1
	v_add_u32_e32 v6, 0xffffffbc, v6
	s_cbranch_scc0 .LBB9_44
; %bb.43:                               ;   in Loop: Header=BB9_36 Depth=1
	s_mov_b32 s9, s4
	s_and_b64 vcc, exec, s[2:3]
	v_mov_b32_e32 v7, 1.0
	s_cbranch_vccnz .LBB9_36
	s_branch .LBB9_35
.LBB9_44:
	s_and_b64 s[2:3], s[10:11], exec
	s_or_b64 exec, exec, s[6:7]
	s_and_saveexec_b64 s[4:5], s[0:1]
	s_cbranch_execz .LBB9_32
.LBB9_45:
	v_mad_u64_u32 v[5:6], s[0:1], v1, s33, v[4:5]
	v_mov_b32_e32 v0, s13
	v_ashrrev_i32_e32 v6, 31, v5
	v_lshlrev_b64 v[5:6], 2, v[5:6]
	v_add_co_u32_e32 v5, vcc, s12, v5
	v_addc_co_u32_e32 v6, vcc, v0, v6, vcc
	global_store_dword v[5:6], v9, off
	s_or_b64 exec, exec, s[4:5]
	v_cmp_eq_u32_e32 vcc, 0, v4
	s_and_b64 exec, exec, vcc
	s_cbranch_execz .LBB9_33
.LBB9_46:
	v_mov_b32_e32 v0, s15
	v_add_co_u32_e32 v2, vcc, s14, v2
	v_addc_co_u32_e32 v3, vcc, v0, v3, vcc
	v_mov_b32_e32 v0, 1
	s_waitcnt vmcnt(0) lgkmcnt(0)
	global_store_dword v[2:3], v0, off
	s_and_b64 exec, exec, s[2:3]
	s_cbranch_execz .LBB9_33
; %bb.47:
	s_mov_b64 s[0:1], exec
	v_add_u32_e32 v0, s8, v1
	s_brev_b32 s2, -2
.LBB9_48:                               ; =>This Inner Loop Header: Depth=1
	s_ff1_i32_b64 s3, s[0:1]
	v_readlane_b32 s6, v0, s3
	s_lshl_b64 s[4:5], 1, s3
	s_min_i32 s2, s2, s6
	s_andn2_b64 s[0:1], s[0:1], s[4:5]
	s_cmp_lg_u64 s[0:1], 0
	s_cbranch_scc1 .LBB9_48
; %bb.49:
	v_mbcnt_lo_u32_b32 v0, exec_lo, 0
	v_mbcnt_hi_u32_b32 v0, exec_hi, v0
	v_cmp_eq_u32_e32 vcc, 0, v0
	s_and_saveexec_b64 s[0:1], vcc
	s_xor_b64 s[0:1], exec, s[0:1]
	s_cbranch_execz .LBB9_33
; %bb.50:
	v_mov_b32_e32 v0, 0
	v_mov_b32_e32 v1, s2
	global_atomic_smin v0, v1, s[20:21]
	s_endpgm
	.section	.rodata,"a",@progbits
	.p2align	6, 0x0
	.amdhsa_kernel _ZN9rocsparseL18bsrsv_upper_sharedILj128ELj64ELi16ELb1EfEEviNS_24const_host_device_scalarIT3_EEPKiS5_PKS2_iS7_PS2_PiS9_S9_21rocsparse_index_base_20rocsparse_diag_type_20rocsparse_direction_b
		.amdhsa_group_segment_fixed_size 2176
		.amdhsa_private_segment_fixed_size 0
		.amdhsa_kernarg_size 104
		.amdhsa_user_sgpr_count 6
		.amdhsa_user_sgpr_private_segment_buffer 1
		.amdhsa_user_sgpr_dispatch_ptr 0
		.amdhsa_user_sgpr_queue_ptr 0
		.amdhsa_user_sgpr_kernarg_segment_ptr 1
		.amdhsa_user_sgpr_dispatch_id 0
		.amdhsa_user_sgpr_flat_scratch_init 0
		.amdhsa_user_sgpr_private_segment_size 0
		.amdhsa_uses_dynamic_stack 0
		.amdhsa_system_sgpr_private_segment_wavefront_offset 0
		.amdhsa_system_sgpr_workgroup_id_x 1
		.amdhsa_system_sgpr_workgroup_id_y 0
		.amdhsa_system_sgpr_workgroup_id_z 0
		.amdhsa_system_sgpr_workgroup_info 0
		.amdhsa_system_vgpr_workitem_id 0
		.amdhsa_next_free_vgpr 40
		.amdhsa_next_free_sgpr 61
		.amdhsa_reserve_vcc 1
		.amdhsa_reserve_flat_scratch 0
		.amdhsa_float_round_mode_32 0
		.amdhsa_float_round_mode_16_64 0
		.amdhsa_float_denorm_mode_32 3
		.amdhsa_float_denorm_mode_16_64 3
		.amdhsa_dx10_clamp 1
		.amdhsa_ieee_mode 1
		.amdhsa_fp16_overflow 0
		.amdhsa_exception_fp_ieee_invalid_op 0
		.amdhsa_exception_fp_denorm_src 0
		.amdhsa_exception_fp_ieee_div_zero 0
		.amdhsa_exception_fp_ieee_overflow 0
		.amdhsa_exception_fp_ieee_underflow 0
		.amdhsa_exception_fp_ieee_inexact 0
		.amdhsa_exception_int_div_zero 0
	.end_amdhsa_kernel
	.section	.text._ZN9rocsparseL18bsrsv_upper_sharedILj128ELj64ELi16ELb1EfEEviNS_24const_host_device_scalarIT3_EEPKiS5_PKS2_iS7_PS2_PiS9_S9_21rocsparse_index_base_20rocsparse_diag_type_20rocsparse_direction_b,"axG",@progbits,_ZN9rocsparseL18bsrsv_upper_sharedILj128ELj64ELi16ELb1EfEEviNS_24const_host_device_scalarIT3_EEPKiS5_PKS2_iS7_PS2_PiS9_S9_21rocsparse_index_base_20rocsparse_diag_type_20rocsparse_direction_b,comdat
.Lfunc_end9:
	.size	_ZN9rocsparseL18bsrsv_upper_sharedILj128ELj64ELi16ELb1EfEEviNS_24const_host_device_scalarIT3_EEPKiS5_PKS2_iS7_PS2_PiS9_S9_21rocsparse_index_base_20rocsparse_diag_type_20rocsparse_direction_b, .Lfunc_end9-_ZN9rocsparseL18bsrsv_upper_sharedILj128ELj64ELi16ELb1EfEEviNS_24const_host_device_scalarIT3_EEPKiS5_PKS2_iS7_PS2_PiS9_S9_21rocsparse_index_base_20rocsparse_diag_type_20rocsparse_direction_b
                                        ; -- End function
	.set _ZN9rocsparseL18bsrsv_upper_sharedILj128ELj64ELi16ELb1EfEEviNS_24const_host_device_scalarIT3_EEPKiS5_PKS2_iS7_PS2_PiS9_S9_21rocsparse_index_base_20rocsparse_diag_type_20rocsparse_direction_b.num_vgpr, 40
	.set _ZN9rocsparseL18bsrsv_upper_sharedILj128ELj64ELi16ELb1EfEEviNS_24const_host_device_scalarIT3_EEPKiS5_PKS2_iS7_PS2_PiS9_S9_21rocsparse_index_base_20rocsparse_diag_type_20rocsparse_direction_b.num_agpr, 0
	.set _ZN9rocsparseL18bsrsv_upper_sharedILj128ELj64ELi16ELb1EfEEviNS_24const_host_device_scalarIT3_EEPKiS5_PKS2_iS7_PS2_PiS9_S9_21rocsparse_index_base_20rocsparse_diag_type_20rocsparse_direction_b.numbered_sgpr, 35
	.set _ZN9rocsparseL18bsrsv_upper_sharedILj128ELj64ELi16ELb1EfEEviNS_24const_host_device_scalarIT3_EEPKiS5_PKS2_iS7_PS2_PiS9_S9_21rocsparse_index_base_20rocsparse_diag_type_20rocsparse_direction_b.num_named_barrier, 0
	.set _ZN9rocsparseL18bsrsv_upper_sharedILj128ELj64ELi16ELb1EfEEviNS_24const_host_device_scalarIT3_EEPKiS5_PKS2_iS7_PS2_PiS9_S9_21rocsparse_index_base_20rocsparse_diag_type_20rocsparse_direction_b.private_seg_size, 0
	.set _ZN9rocsparseL18bsrsv_upper_sharedILj128ELj64ELi16ELb1EfEEviNS_24const_host_device_scalarIT3_EEPKiS5_PKS2_iS7_PS2_PiS9_S9_21rocsparse_index_base_20rocsparse_diag_type_20rocsparse_direction_b.uses_vcc, 1
	.set _ZN9rocsparseL18bsrsv_upper_sharedILj128ELj64ELi16ELb1EfEEviNS_24const_host_device_scalarIT3_EEPKiS5_PKS2_iS7_PS2_PiS9_S9_21rocsparse_index_base_20rocsparse_diag_type_20rocsparse_direction_b.uses_flat_scratch, 0
	.set _ZN9rocsparseL18bsrsv_upper_sharedILj128ELj64ELi16ELb1EfEEviNS_24const_host_device_scalarIT3_EEPKiS5_PKS2_iS7_PS2_PiS9_S9_21rocsparse_index_base_20rocsparse_diag_type_20rocsparse_direction_b.has_dyn_sized_stack, 0
	.set _ZN9rocsparseL18bsrsv_upper_sharedILj128ELj64ELi16ELb1EfEEviNS_24const_host_device_scalarIT3_EEPKiS5_PKS2_iS7_PS2_PiS9_S9_21rocsparse_index_base_20rocsparse_diag_type_20rocsparse_direction_b.has_recursion, 0
	.set _ZN9rocsparseL18bsrsv_upper_sharedILj128ELj64ELi16ELb1EfEEviNS_24const_host_device_scalarIT3_EEPKiS5_PKS2_iS7_PS2_PiS9_S9_21rocsparse_index_base_20rocsparse_diag_type_20rocsparse_direction_b.has_indirect_call, 0
	.section	.AMDGPU.csdata,"",@progbits
; Kernel info:
; codeLenInByte = 1832
; TotalNumSgprs: 39
; NumVgprs: 40
; ScratchSize: 0
; MemoryBound: 0
; FloatMode: 240
; IeeeMode: 1
; LDSByteSize: 2176 bytes/workgroup (compile time only)
; SGPRBlocks: 8
; VGPRBlocks: 9
; NumSGPRsForWavesPerEU: 65
; NumVGPRsForWavesPerEU: 40
; Occupancy: 6
; WaveLimiterHint : 1
; COMPUTE_PGM_RSRC2:SCRATCH_EN: 0
; COMPUTE_PGM_RSRC2:USER_SGPR: 6
; COMPUTE_PGM_RSRC2:TRAP_HANDLER: 0
; COMPUTE_PGM_RSRC2:TGID_X_EN: 1
; COMPUTE_PGM_RSRC2:TGID_Y_EN: 0
; COMPUTE_PGM_RSRC2:TGID_Z_EN: 0
; COMPUTE_PGM_RSRC2:TIDIG_COMP_CNT: 0
	.section	.text._ZN9rocsparseL18bsrsv_upper_sharedILj128ELj64ELi16ELb0EfEEviNS_24const_host_device_scalarIT3_EEPKiS5_PKS2_iS7_PS2_PiS9_S9_21rocsparse_index_base_20rocsparse_diag_type_20rocsparse_direction_b,"axG",@progbits,_ZN9rocsparseL18bsrsv_upper_sharedILj128ELj64ELi16ELb0EfEEviNS_24const_host_device_scalarIT3_EEPKiS5_PKS2_iS7_PS2_PiS9_S9_21rocsparse_index_base_20rocsparse_diag_type_20rocsparse_direction_b,comdat
	.globl	_ZN9rocsparseL18bsrsv_upper_sharedILj128ELj64ELi16ELb0EfEEviNS_24const_host_device_scalarIT3_EEPKiS5_PKS2_iS7_PS2_PiS9_S9_21rocsparse_index_base_20rocsparse_diag_type_20rocsparse_direction_b ; -- Begin function _ZN9rocsparseL18bsrsv_upper_sharedILj128ELj64ELi16ELb0EfEEviNS_24const_host_device_scalarIT3_EEPKiS5_PKS2_iS7_PS2_PiS9_S9_21rocsparse_index_base_20rocsparse_diag_type_20rocsparse_direction_b
	.p2align	8
	.type	_ZN9rocsparseL18bsrsv_upper_sharedILj128ELj64ELi16ELb0EfEEviNS_24const_host_device_scalarIT3_EEPKiS5_PKS2_iS7_PS2_PiS9_S9_21rocsparse_index_base_20rocsparse_diag_type_20rocsparse_direction_b,@function
_ZN9rocsparseL18bsrsv_upper_sharedILj128ELj64ELi16ELb0EfEEviNS_24const_host_device_scalarIT3_EEPKiS5_PKS2_iS7_PS2_PiS9_S9_21rocsparse_index_base_20rocsparse_diag_type_20rocsparse_direction_b: ; @_ZN9rocsparseL18bsrsv_upper_sharedILj128ELj64ELi16ELb0EfEEviNS_24const_host_device_scalarIT3_EEPKiS5_PKS2_iS7_PS2_PiS9_S9_21rocsparse_index_base_20rocsparse_diag_type_20rocsparse_direction_b
; %bb.0:
	s_load_dwordx4 s[8:11], s[4:5], 0x58
	s_load_dwordx2 s[2:3], s[4:5], 0x8
	s_waitcnt lgkmcnt(0)
	s_bitcmp1_b32 s11, 0
	s_cselect_b64 s[0:1], -1, 0
	s_and_b64 vcc, exec, s[0:1]
	s_cbranch_vccnz .LBB10_2
; %bb.1:
	s_load_dword s2, s[2:3], 0x0
.LBB10_2:
	s_nop 0
	s_load_dword s3, s[4:5], 0x0
	s_lshl_b32 s0, s6, 1
	v_lshrrev_b32_e32 v7, 6, v0
	s_and_b32 s0, s0, 0x3fffffe
	v_or_b32_e32 v1, s0, v7
	s_waitcnt lgkmcnt(0)
	v_cmp_gt_i32_e32 vcc, s3, v1
	s_and_saveexec_b64 s[0:1], vcc
	s_cbranch_execz .LBB10_31
; %bb.3:
	s_load_dwordx2 s[0:1], s[4:5], 0x48
	s_load_dwordx4 s[12:15], s[4:5], 0x38
	v_lshlrev_b32_e32 v1, 2, v1
	v_mov_b32_e32 v8, 0
	s_waitcnt lgkmcnt(0)
	global_load_dword v1, v1, s[0:1]
	s_load_dwordx2 s[0:1], s[4:5], 0x10
	s_load_dword s33, s[4:5], 0x28
	s_waitcnt lgkmcnt(0)
	v_mov_b32_e32 v5, s1
	s_waitcnt vmcnt(0)
	v_ashrrev_i32_e32 v2, 31, v1
	v_lshlrev_b64 v[2:3], 2, v[1:2]
	v_add_co_u32_e32 v4, vcc, s0, v2
	v_addc_co_u32_e32 v5, vcc, v5, v3, vcc
	global_load_dwordx2 v[5:6], v[4:5], off
	v_and_b32_e32 v4, 63, v0
	v_cmp_gt_i32_e64 s[0:1], s33, v4
	s_and_saveexec_b64 s[6:7], s[0:1]
	s_cbranch_execz .LBB10_5
; %bb.4:
	s_waitcnt vmcnt(0)
	v_mad_u64_u32 v[8:9], s[16:17], v1, s33, v[4:5]
	s_load_dwordx2 s[16:17], s[4:5], 0x30
	v_ashrrev_i32_e32 v9, 31, v8
	v_lshlrev_b64 v[8:9], 2, v[8:9]
	s_waitcnt lgkmcnt(0)
	v_mov_b32_e32 v10, s17
	v_add_co_u32_e32 v8, vcc, s16, v8
	v_addc_co_u32_e32 v9, vcc, v10, v9, vcc
	global_load_dword v8, v[8:9], off
.LBB10_5:
	s_or_b64 exec, exec, s[6:7]
	s_load_dwordx2 s[20:21], s[4:5], 0x50
	s_waitcnt vmcnt(0)
	v_subrev_u32_e32 v12, s8, v5
	v_xad_u32 v5, s8, -1, v6
	v_mul_f32_e32 v9, s2, v8
	v_lshlrev_b32_e32 v10, 10, v7
	v_cmp_ge_i32_e32 vcc, v5, v12
	v_mov_b32_e32 v6, s3
	v_lshlrev_b32_e32 v11, 2, v4
	s_and_saveexec_b64 s[22:23], vcc
	s_cbranch_execz .LBB10_28
; %bb.6:
	v_mov_b32_e32 v6, 0x800
	v_and_or_b32 v13, v0, 64, v6
	v_and_b32_e32 v0, 15, v0
	s_load_dwordx4 s[16:19], s[4:5], 0x18
	v_mad_u64_u32 v[6:7], s[4:5], s33, v5, v[0:1]
	v_lshrrev_b32_e32 v14, 4, v4
	s_cmp_lg_u32 s10, 0
	v_mul_lo_u32 v17, s33, v6
	v_lshlrev_b32_e32 v6, 6, v14
	v_lshlrev_b32_e32 v7, 2, v0
	v_cmp_gt_i32_e64 s[2:3], s33, v0
	s_cselect_b64 s[10:11], -1, 0
	v_cmp_gt_u32_e64 s[4:5], 16, v4
	v_add_u32_e32 v15, v13, v11
	v_add_u32_e32 v16, v10, v11
	s_mul_i32 s34, s33, s33
	v_add3_u32 v18, v10, v6, v7
	s_mov_b64 s[24:25], 0
	s_waitcnt lgkmcnt(0)
	v_mov_b32_e32 v19, s17
	s_branch .LBB10_9
.LBB10_7:                               ;   in Loop: Header=BB10_9 Depth=1
	s_or_b64 exec, exec, s[6:7]
.LBB10_8:                               ;   in Loop: Header=BB10_9 Depth=1
	s_or_b64 exec, exec, s[26:27]
	v_cmp_le_i32_e64 s[6:7], v5, v12
	s_xor_b64 s[26:27], vcc, -1
	s_or_b64 s[6:7], s[26:27], s[6:7]
	v_add_u32_e32 v7, -1, v5
	s_and_b64 s[6:7], exec, s[6:7]
	v_subrev_u32_e32 v17, s34, v17
	s_or_b64 s[24:25], s[6:7], s[24:25]
	v_mov_b32_e32 v5, v7
	s_andn2_b64 exec, exec, s[24:25]
	s_cbranch_execz .LBB10_27
.LBB10_9:                               ; =>This Loop Header: Depth=1
                                        ;     Child Loop BB10_12 Depth 2
                                        ;     Child Loop BB10_20 Depth 2
	v_ashrrev_i32_e32 v6, 31, v5
	v_lshlrev_b64 v[6:7], 2, v[5:6]
	v_mul_lo_u32 v20, v5, s33
	v_add_co_u32_e32 v6, vcc, s16, v6
	v_addc_co_u32_e32 v7, vcc, v19, v7, vcc
	global_load_dword v8, v[6:7], off
	s_mov_b64 s[6:7], 0
	v_mov_b32_e32 v21, v18
	v_mov_b32_e32 v22, v14
	s_branch .LBB10_12
.LBB10_10:                              ;   in Loop: Header=BB10_12 Depth=2
	v_ashrrev_i32_e32 v7, 31, v6
	v_lshlrev_b64 v[6:7], 2, v[6:7]
	v_mov_b32_e32 v23, s19
	v_add_co_u32_e32 v6, vcc, s18, v6
	v_addc_co_u32_e32 v7, vcc, v23, v7, vcc
	global_load_dword v6, v[6:7], off
.LBB10_11:                              ;   in Loop: Header=BB10_12 Depth=2
	s_or_b64 exec, exec, s[26:27]
	s_waitcnt vmcnt(0)
	ds_write_b32 v21, v6
	v_add_u32_e32 v6, 4, v22
	v_cmp_lt_u32_e32 vcc, 11, v22
	v_add_u32_e32 v21, 0x100, v21
	s_or_b64 s[6:7], vcc, s[6:7]
	v_mov_b32_e32 v22, v6
	s_andn2_b64 exec, exec, s[6:7]
	s_cbranch_execz .LBB10_17
.LBB10_12:                              ;   Parent Loop BB10_9 Depth=1
                                        ; =>  This Inner Loop Header: Depth=2
	v_cmp_gt_i32_e32 vcc, s33, v22
	s_and_b64 s[28:29], s[2:3], vcc
	v_mov_b32_e32 v6, 0
	s_and_saveexec_b64 s[26:27], s[28:29]
	s_cbranch_execz .LBB10_11
; %bb.13:                               ;   in Loop: Header=BB10_12 Depth=2
	s_and_b64 vcc, exec, s[10:11]
	s_cbranch_vccz .LBB10_15
; %bb.14:                               ;   in Loop: Header=BB10_12 Depth=2
	v_add_u32_e32 v6, v22, v20
	v_mad_u64_u32 v[6:7], s[28:29], v6, s33, v[0:1]
	s_cbranch_execnz .LBB10_10
	s_branch .LBB10_16
.LBB10_15:                              ;   in Loop: Header=BB10_12 Depth=2
                                        ; implicit-def: $vgpr6
.LBB10_16:                              ;   in Loop: Header=BB10_12 Depth=2
	v_add_u32_e32 v6, v17, v22
	s_branch .LBB10_10
.LBB10_17:                              ;   in Loop: Header=BB10_9 Depth=1
	s_or_b64 exec, exec, s[6:7]
	v_subrev_u32_e32 v6, s8, v8
	v_cmp_gt_i32_e32 vcc, v6, v1
	s_and_saveexec_b64 s[26:27], vcc
	s_cbranch_execz .LBB10_8
; %bb.18:                               ;   in Loop: Header=BB10_9 Depth=1
	v_ashrrev_i32_e32 v7, 31, v6
	v_lshlrev_b64 v[7:8], 2, v[6:7]
	v_mov_b32_e32 v20, s15
	v_add_co_u32_e64 v7, s[6:7], s14, v7
	v_addc_co_u32_e64 v8, s[6:7], v20, v8, s[6:7]
	global_load_dword v20, v[7:8], off glc
	s_waitcnt vmcnt(0)
	v_cmp_eq_u32_e64 s[6:7], 0, v20
	s_and_saveexec_b64 s[28:29], s[6:7]
	s_cbranch_execz .LBB10_21
; %bb.19:                               ;   in Loop: Header=BB10_9 Depth=1
	s_mov_b64 s[30:31], 0
.LBB10_20:                              ;   Parent Loop BB10_9 Depth=1
                                        ; =>  This Inner Loop Header: Depth=2
	global_load_dword v20, v[7:8], off glc
	s_waitcnt vmcnt(0)
	v_cmp_ne_u32_e64 s[6:7], 0, v20
	s_or_b64 s[30:31], s[6:7], s[30:31]
	s_andn2_b64 exec, exec, s[30:31]
	s_cbranch_execnz .LBB10_20
.LBB10_21:                              ;   in Loop: Header=BB10_9 Depth=1
	s_or_b64 exec, exec, s[28:29]
	s_waitcnt lgkmcnt(0)
	buffer_wbinvl1_vol
	s_and_saveexec_b64 s[28:29], s[4:5]
	s_cbranch_execz .LBB10_25
; %bb.22:                               ;   in Loop: Header=BB10_9 Depth=1
	v_mov_b32_e32 v7, 0
	s_and_saveexec_b64 s[30:31], s[0:1]
	s_cbranch_execz .LBB10_24
; %bb.23:                               ;   in Loop: Header=BB10_9 Depth=1
	v_mad_u64_u32 v[7:8], s[6:7], v6, s33, v[4:5]
	v_mov_b32_e32 v20, s13
	v_ashrrev_i32_e32 v8, 31, v7
	v_lshlrev_b64 v[7:8], 2, v[7:8]
	v_add_co_u32_e64 v7, s[6:7], s12, v7
	v_addc_co_u32_e64 v8, s[6:7], v20, v8, s[6:7]
	global_load_dword v7, v[7:8], off
.LBB10_24:                              ;   in Loop: Header=BB10_9 Depth=1
	s_or_b64 exec, exec, s[30:31]
	s_waitcnt vmcnt(0)
	ds_write_b32 v15, v7
.LBB10_25:                              ;   in Loop: Header=BB10_9 Depth=1
	s_or_b64 exec, exec, s[28:29]
	s_waitcnt lgkmcnt(0)
	s_and_saveexec_b64 s[6:7], s[0:1]
	s_cbranch_execz .LBB10_7
; %bb.26:                               ;   in Loop: Header=BB10_9 Depth=1
	ds_read2_b32 v[7:8], v16 offset1:16
	ds_read_b128 v[20:23], v13
	ds_read_b128 v[24:27], v13 offset:16
	ds_read2_b32 v[36:37], v16 offset0:32 offset1:48
	ds_read_b128 v[28:31], v13 offset:32
	ds_read_b128 v[32:35], v13 offset:48
	s_waitcnt lgkmcnt(4)
	v_fma_f32 v7, -v7, v20, v9
	ds_read2_b32 v[38:39], v16 offset0:64 offset1:80
	v_fma_f32 v7, -v8, v21, v7
	s_waitcnt lgkmcnt(3)
	v_fma_f32 v9, -v36, v22, v7
	ds_read2_b32 v[7:8], v16 offset0:96 offset1:112
	v_fma_f32 v9, -v37, v23, v9
	;; [unrolled: 4-line block ×3, first 2 shown]
	s_waitcnt lgkmcnt(1)
	v_fma_f32 v7, -v7, v26, v9
	v_fma_f32 v9, -v8, v27, v7
	ds_read2_b32 v[7:8], v16 offset0:160 offset1:176
	ds_read2_b32 v[22:23], v16 offset0:192 offset1:208
	s_waitcnt lgkmcnt(2)
	v_fma_f32 v9, -v20, v28, v9
	v_fma_f32 v9, -v21, v29, v9
	ds_read2_b32 v[20:21], v16 offset0:224 offset1:240
	s_waitcnt lgkmcnt(2)
	v_fma_f32 v7, -v7, v30, v9
	v_fma_f32 v7, -v8, v31, v7
	s_waitcnt lgkmcnt(1)
	v_fma_f32 v7, -v22, v32, v7
	v_fma_f32 v7, -v23, v33, v7
	;; [unrolled: 3-line block ×3, first 2 shown]
	s_branch .LBB10_7
.LBB10_27:
	s_or_b64 exec, exec, s[24:25]
.LBB10_28:
	s_or_b64 exec, exec, s[22:23]
	s_cmp_gt_i32 s33, 0
	v_cmp_eq_u32_e32 vcc, v6, v1
	s_cselect_b64 s[2:3], -1, 0
	s_and_b64 s[4:5], s[2:3], vcc
	s_mov_b64 s[2:3], 0
	s_and_saveexec_b64 s[6:7], s[4:5]
	s_cbranch_execnz .LBB10_32
; %bb.29:
	s_or_b64 exec, exec, s[6:7]
	s_and_saveexec_b64 s[4:5], s[0:1]
	s_cbranch_execnz .LBB10_43
.LBB10_30:
	s_or_b64 exec, exec, s[4:5]
	v_cmp_eq_u32_e32 vcc, 0, v4
	s_and_b64 exec, exec, vcc
	s_cbranch_execnz .LBB10_44
.LBB10_31:
	s_endpgm
.LBB10_32:
	s_cmp_eq_u32 s9, 0
	v_lshl_add_u32 v5, s33, 6, v10
	s_movk_i32 s4, 0xffc0
	s_cselect_b64 s[2:3], -1, 0
	v_mbcnt_lo_u32_b32 v0, -1, 0
	v_add3_u32 v5, v5, v11, s4
	s_mul_i32 s4, s33, 0x44
	v_mbcnt_hi_u32_b32 v0, -1, v0
	v_add_u32_e32 v6, s4, v10
	v_cndmask_b32_e64 v7, 0, 1, s[2:3]
	v_and_b32_e32 v0, 64, v0
	s_add_i32 s9, s33, -1
	v_add_u32_e32 v6, 0xffffffbc, v6
	s_mov_b64 s[10:11], 0
	v_cmp_ne_u32_e64 s[2:3], 1, v7
	s_and_b64 vcc, exec, s[2:3]
	v_mov_b32_e32 v7, 1.0
	s_cbranch_vccnz .LBB10_34
.LBB10_33:
	ds_read_b32 v7, v6
.LBB10_34:                              ; =>This Inner Loop Header: Depth=1
	v_and_or_b32 v8, s9, 63, v0
	v_lshlrev_b32_e32 v8, 2, v8
	ds_bpermute_b32 v8, v8, v9
	s_waitcnt lgkmcnt(0)
	v_cmp_eq_f32_e64 s[4:5], 0, v7
	s_and_saveexec_b64 s[16:17], s[0:1]
	s_cbranch_execz .LBB10_40
; %bb.35:                               ;   in Loop: Header=BB10_34 Depth=1
	v_div_scale_f32 v10, s[18:19], v7, v7, v8
	v_div_scale_f32 v11, vcc, v8, v7, v8
	v_rcp_f32_e32 v12, v10
	v_fma_f32 v13, -v10, v12, 1.0
	v_fmac_f32_e32 v12, v13, v12
	v_mul_f32_e32 v13, v11, v12
	v_fma_f32 v14, -v10, v13, v11
	v_fmac_f32_e32 v13, v14, v12
	v_fma_f32 v10, -v10, v13, v11
	v_div_fmas_f32 v10, v10, v12, v13
	v_cmp_le_i32_e32 vcc, s9, v4
	v_div_fixup_f32 v7, v10, v7, v8
	v_cndmask_b32_e64 v7, v7, v8, s[4:5]
	s_and_saveexec_b64 s[18:19], vcc
	s_xor_b64 s[18:19], exec, s[18:19]
; %bb.36:                               ;   in Loop: Header=BB10_34 Depth=1
	v_cmp_eq_u32_e32 vcc, s9, v4
	v_cndmask_b32_e32 v9, v9, v7, vcc
                                        ; implicit-def: $vgpr7
; %bb.37:                               ;   in Loop: Header=BB10_34 Depth=1
	s_andn2_saveexec_b64 s[18:19], s[18:19]
	s_cbranch_execz .LBB10_39
; %bb.38:                               ;   in Loop: Header=BB10_34 Depth=1
	ds_read_b32 v8, v5
	s_waitcnt lgkmcnt(0)
	v_fma_f32 v9, -v7, v8, v9
.LBB10_39:                              ;   in Loop: Header=BB10_34 Depth=1
	s_or_b64 exec, exec, s[18:19]
.LBB10_40:                              ;   in Loop: Header=BB10_34 Depth=1
	s_or_b64 exec, exec, s[16:17]
	s_or_b64 s[10:11], s[4:5], s[10:11]
	s_add_i32 s4, s9, -1
	s_add_i32 s5, s9, 1
	v_subrev_u32_e32 v5, 64, v5
	s_cmp_gt_u32 s5, 1
	v_add_u32_e32 v6, 0xffffffbc, v6
	s_cbranch_scc0 .LBB10_42
; %bb.41:                               ;   in Loop: Header=BB10_34 Depth=1
	s_mov_b32 s9, s4
	s_and_b64 vcc, exec, s[2:3]
	v_mov_b32_e32 v7, 1.0
	s_cbranch_vccnz .LBB10_34
	s_branch .LBB10_33
.LBB10_42:
	s_and_b64 s[2:3], s[10:11], exec
	s_or_b64 exec, exec, s[6:7]
	s_and_saveexec_b64 s[4:5], s[0:1]
	s_cbranch_execz .LBB10_30
.LBB10_43:
	v_mad_u64_u32 v[5:6], s[0:1], v1, s33, v[4:5]
	v_mov_b32_e32 v0, s13
	v_ashrrev_i32_e32 v6, 31, v5
	v_lshlrev_b64 v[5:6], 2, v[5:6]
	v_add_co_u32_e32 v5, vcc, s12, v5
	v_addc_co_u32_e32 v6, vcc, v0, v6, vcc
	global_store_dword v[5:6], v9, off
	s_or_b64 exec, exec, s[4:5]
	v_cmp_eq_u32_e32 vcc, 0, v4
	s_and_b64 exec, exec, vcc
	s_cbranch_execz .LBB10_31
.LBB10_44:
	v_mov_b32_e32 v0, s15
	v_add_co_u32_e32 v2, vcc, s14, v2
	v_addc_co_u32_e32 v3, vcc, v0, v3, vcc
	v_mov_b32_e32 v0, 1
	s_waitcnt vmcnt(0) lgkmcnt(0)
	global_store_dword v[2:3], v0, off
	s_and_b64 exec, exec, s[2:3]
	s_cbranch_execz .LBB10_31
; %bb.45:
	s_mov_b64 s[0:1], exec
	v_add_u32_e32 v0, s8, v1
	s_brev_b32 s2, -2
.LBB10_46:                              ; =>This Inner Loop Header: Depth=1
	s_ff1_i32_b64 s3, s[0:1]
	v_readlane_b32 s6, v0, s3
	s_lshl_b64 s[4:5], 1, s3
	s_min_i32 s2, s2, s6
	s_andn2_b64 s[0:1], s[0:1], s[4:5]
	s_cmp_lg_u64 s[0:1], 0
	s_cbranch_scc1 .LBB10_46
; %bb.47:
	v_mbcnt_lo_u32_b32 v0, exec_lo, 0
	v_mbcnt_hi_u32_b32 v0, exec_hi, v0
	v_cmp_eq_u32_e32 vcc, 0, v0
	s_and_saveexec_b64 s[0:1], vcc
	s_xor_b64 s[0:1], exec, s[0:1]
	s_cbranch_execz .LBB10_31
; %bb.48:
	v_mov_b32_e32 v0, 0
	v_mov_b32_e32 v1, s2
	global_atomic_smin v0, v1, s[20:21]
	s_endpgm
	.section	.rodata,"a",@progbits
	.p2align	6, 0x0
	.amdhsa_kernel _ZN9rocsparseL18bsrsv_upper_sharedILj128ELj64ELi16ELb0EfEEviNS_24const_host_device_scalarIT3_EEPKiS5_PKS2_iS7_PS2_PiS9_S9_21rocsparse_index_base_20rocsparse_diag_type_20rocsparse_direction_b
		.amdhsa_group_segment_fixed_size 2176
		.amdhsa_private_segment_fixed_size 0
		.amdhsa_kernarg_size 104
		.amdhsa_user_sgpr_count 6
		.amdhsa_user_sgpr_private_segment_buffer 1
		.amdhsa_user_sgpr_dispatch_ptr 0
		.amdhsa_user_sgpr_queue_ptr 0
		.amdhsa_user_sgpr_kernarg_segment_ptr 1
		.amdhsa_user_sgpr_dispatch_id 0
		.amdhsa_user_sgpr_flat_scratch_init 0
		.amdhsa_user_sgpr_private_segment_size 0
		.amdhsa_uses_dynamic_stack 0
		.amdhsa_system_sgpr_private_segment_wavefront_offset 0
		.amdhsa_system_sgpr_workgroup_id_x 1
		.amdhsa_system_sgpr_workgroup_id_y 0
		.amdhsa_system_sgpr_workgroup_id_z 0
		.amdhsa_system_sgpr_workgroup_info 0
		.amdhsa_system_vgpr_workitem_id 0
		.amdhsa_next_free_vgpr 40
		.amdhsa_next_free_sgpr 61
		.amdhsa_reserve_vcc 1
		.amdhsa_reserve_flat_scratch 0
		.amdhsa_float_round_mode_32 0
		.amdhsa_float_round_mode_16_64 0
		.amdhsa_float_denorm_mode_32 3
		.amdhsa_float_denorm_mode_16_64 3
		.amdhsa_dx10_clamp 1
		.amdhsa_ieee_mode 1
		.amdhsa_fp16_overflow 0
		.amdhsa_exception_fp_ieee_invalid_op 0
		.amdhsa_exception_fp_denorm_src 0
		.amdhsa_exception_fp_ieee_div_zero 0
		.amdhsa_exception_fp_ieee_overflow 0
		.amdhsa_exception_fp_ieee_underflow 0
		.amdhsa_exception_fp_ieee_inexact 0
		.amdhsa_exception_int_div_zero 0
	.end_amdhsa_kernel
	.section	.text._ZN9rocsparseL18bsrsv_upper_sharedILj128ELj64ELi16ELb0EfEEviNS_24const_host_device_scalarIT3_EEPKiS5_PKS2_iS7_PS2_PiS9_S9_21rocsparse_index_base_20rocsparse_diag_type_20rocsparse_direction_b,"axG",@progbits,_ZN9rocsparseL18bsrsv_upper_sharedILj128ELj64ELi16ELb0EfEEviNS_24const_host_device_scalarIT3_EEPKiS5_PKS2_iS7_PS2_PiS9_S9_21rocsparse_index_base_20rocsparse_diag_type_20rocsparse_direction_b,comdat
.Lfunc_end10:
	.size	_ZN9rocsparseL18bsrsv_upper_sharedILj128ELj64ELi16ELb0EfEEviNS_24const_host_device_scalarIT3_EEPKiS5_PKS2_iS7_PS2_PiS9_S9_21rocsparse_index_base_20rocsparse_diag_type_20rocsparse_direction_b, .Lfunc_end10-_ZN9rocsparseL18bsrsv_upper_sharedILj128ELj64ELi16ELb0EfEEviNS_24const_host_device_scalarIT3_EEPKiS5_PKS2_iS7_PS2_PiS9_S9_21rocsparse_index_base_20rocsparse_diag_type_20rocsparse_direction_b
                                        ; -- End function
	.set _ZN9rocsparseL18bsrsv_upper_sharedILj128ELj64ELi16ELb0EfEEviNS_24const_host_device_scalarIT3_EEPKiS5_PKS2_iS7_PS2_PiS9_S9_21rocsparse_index_base_20rocsparse_diag_type_20rocsparse_direction_b.num_vgpr, 40
	.set _ZN9rocsparseL18bsrsv_upper_sharedILj128ELj64ELi16ELb0EfEEviNS_24const_host_device_scalarIT3_EEPKiS5_PKS2_iS7_PS2_PiS9_S9_21rocsparse_index_base_20rocsparse_diag_type_20rocsparse_direction_b.num_agpr, 0
	.set _ZN9rocsparseL18bsrsv_upper_sharedILj128ELj64ELi16ELb0EfEEviNS_24const_host_device_scalarIT3_EEPKiS5_PKS2_iS7_PS2_PiS9_S9_21rocsparse_index_base_20rocsparse_diag_type_20rocsparse_direction_b.numbered_sgpr, 35
	.set _ZN9rocsparseL18bsrsv_upper_sharedILj128ELj64ELi16ELb0EfEEviNS_24const_host_device_scalarIT3_EEPKiS5_PKS2_iS7_PS2_PiS9_S9_21rocsparse_index_base_20rocsparse_diag_type_20rocsparse_direction_b.num_named_barrier, 0
	.set _ZN9rocsparseL18bsrsv_upper_sharedILj128ELj64ELi16ELb0EfEEviNS_24const_host_device_scalarIT3_EEPKiS5_PKS2_iS7_PS2_PiS9_S9_21rocsparse_index_base_20rocsparse_diag_type_20rocsparse_direction_b.private_seg_size, 0
	.set _ZN9rocsparseL18bsrsv_upper_sharedILj128ELj64ELi16ELb0EfEEviNS_24const_host_device_scalarIT3_EEPKiS5_PKS2_iS7_PS2_PiS9_S9_21rocsparse_index_base_20rocsparse_diag_type_20rocsparse_direction_b.uses_vcc, 1
	.set _ZN9rocsparseL18bsrsv_upper_sharedILj128ELj64ELi16ELb0EfEEviNS_24const_host_device_scalarIT3_EEPKiS5_PKS2_iS7_PS2_PiS9_S9_21rocsparse_index_base_20rocsparse_diag_type_20rocsparse_direction_b.uses_flat_scratch, 0
	.set _ZN9rocsparseL18bsrsv_upper_sharedILj128ELj64ELi16ELb0EfEEviNS_24const_host_device_scalarIT3_EEPKiS5_PKS2_iS7_PS2_PiS9_S9_21rocsparse_index_base_20rocsparse_diag_type_20rocsparse_direction_b.has_dyn_sized_stack, 0
	.set _ZN9rocsparseL18bsrsv_upper_sharedILj128ELj64ELi16ELb0EfEEviNS_24const_host_device_scalarIT3_EEPKiS5_PKS2_iS7_PS2_PiS9_S9_21rocsparse_index_base_20rocsparse_diag_type_20rocsparse_direction_b.has_recursion, 0
	.set _ZN9rocsparseL18bsrsv_upper_sharedILj128ELj64ELi16ELb0EfEEviNS_24const_host_device_scalarIT3_EEPKiS5_PKS2_iS7_PS2_PiS9_S9_21rocsparse_index_base_20rocsparse_diag_type_20rocsparse_direction_b.has_indirect_call, 0
	.section	.AMDGPU.csdata,"",@progbits
; Kernel info:
; codeLenInByte = 1776
; TotalNumSgprs: 39
; NumVgprs: 40
; ScratchSize: 0
; MemoryBound: 0
; FloatMode: 240
; IeeeMode: 1
; LDSByteSize: 2176 bytes/workgroup (compile time only)
; SGPRBlocks: 8
; VGPRBlocks: 9
; NumSGPRsForWavesPerEU: 65
; NumVGPRsForWavesPerEU: 40
; Occupancy: 6
; WaveLimiterHint : 1
; COMPUTE_PGM_RSRC2:SCRATCH_EN: 0
; COMPUTE_PGM_RSRC2:USER_SGPR: 6
; COMPUTE_PGM_RSRC2:TRAP_HANDLER: 0
; COMPUTE_PGM_RSRC2:TGID_X_EN: 1
; COMPUTE_PGM_RSRC2:TGID_Y_EN: 0
; COMPUTE_PGM_RSRC2:TGID_Z_EN: 0
; COMPUTE_PGM_RSRC2:TIDIG_COMP_CNT: 0
	.section	.text._ZN9rocsparseL18bsrsv_lower_sharedILj128ELj64ELi32ELb1EfEEviNS_24const_host_device_scalarIT3_EEPKiS5_PKS2_iS7_PS2_PiS9_S9_21rocsparse_index_base_20rocsparse_diag_type_20rocsparse_direction_b,"axG",@progbits,_ZN9rocsparseL18bsrsv_lower_sharedILj128ELj64ELi32ELb1EfEEviNS_24const_host_device_scalarIT3_EEPKiS5_PKS2_iS7_PS2_PiS9_S9_21rocsparse_index_base_20rocsparse_diag_type_20rocsparse_direction_b,comdat
	.globl	_ZN9rocsparseL18bsrsv_lower_sharedILj128ELj64ELi32ELb1EfEEviNS_24const_host_device_scalarIT3_EEPKiS5_PKS2_iS7_PS2_PiS9_S9_21rocsparse_index_base_20rocsparse_diag_type_20rocsparse_direction_b ; -- Begin function _ZN9rocsparseL18bsrsv_lower_sharedILj128ELj64ELi32ELb1EfEEviNS_24const_host_device_scalarIT3_EEPKiS5_PKS2_iS7_PS2_PiS9_S9_21rocsparse_index_base_20rocsparse_diag_type_20rocsparse_direction_b
	.p2align	8
	.type	_ZN9rocsparseL18bsrsv_lower_sharedILj128ELj64ELi32ELb1EfEEviNS_24const_host_device_scalarIT3_EEPKiS5_PKS2_iS7_PS2_PiS9_S9_21rocsparse_index_base_20rocsparse_diag_type_20rocsparse_direction_b,@function
_ZN9rocsparseL18bsrsv_lower_sharedILj128ELj64ELi32ELb1EfEEviNS_24const_host_device_scalarIT3_EEPKiS5_PKS2_iS7_PS2_PiS9_S9_21rocsparse_index_base_20rocsparse_diag_type_20rocsparse_direction_b: ; @_ZN9rocsparseL18bsrsv_lower_sharedILj128ELj64ELi32ELb1EfEEviNS_24const_host_device_scalarIT3_EEPKiS5_PKS2_iS7_PS2_PiS9_S9_21rocsparse_index_base_20rocsparse_diag_type_20rocsparse_direction_b
; %bb.0:
	s_load_dwordx4 s[8:11], s[4:5], 0x58
	s_load_dwordx2 s[2:3], s[4:5], 0x8
	s_waitcnt lgkmcnt(0)
	s_bitcmp1_b32 s11, 0
	s_cselect_b64 s[0:1], -1, 0
	s_and_b64 vcc, exec, s[0:1]
	s_cbranch_vccnz .LBB11_2
; %bb.1:
	s_load_dword s2, s[2:3], 0x0
.LBB11_2:
	s_nop 0
	s_load_dword s3, s[4:5], 0x0
	s_lshl_b32 s0, s6, 1
	v_lshrrev_b32_e32 v5, 6, v0
	s_and_b32 s0, s0, 0x3fffffe
	v_or_b32_e32 v1, s0, v5
	s_waitcnt lgkmcnt(0)
	v_cmp_gt_i32_e32 vcc, s3, v1
	s_and_saveexec_b64 s[0:1], vcc
	s_cbranch_execz .LBB11_33
; %bb.3:
	s_load_dwordx2 s[0:1], s[4:5], 0x48
	s_load_dwordx4 s[12:15], s[4:5], 0x38
	v_lshlrev_b32_e32 v1, 2, v1
	s_waitcnt lgkmcnt(0)
	global_load_dword v1, v1, s[0:1]
	s_load_dwordx2 s[0:1], s[4:5], 0x10
	s_load_dword s33, s[4:5], 0x28
	s_waitcnt lgkmcnt(0)
	v_mov_b32_e32 v4, s1
	s_waitcnt vmcnt(0)
	v_ashrrev_i32_e32 v2, 31, v1
	v_lshlrev_b64 v[2:3], 2, v[1:2]
	v_add_co_u32_e32 v6, vcc, s0, v2
	v_addc_co_u32_e32 v7, vcc, v4, v3, vcc
	global_load_dwordx2 v[7:8], v[6:7], off
	v_and_b32_e32 v4, 63, v0
	v_cmp_gt_i32_e64 s[0:1], s33, v4
	v_mov_b32_e32 v6, 0
	s_and_saveexec_b64 s[6:7], s[0:1]
	s_cbranch_execz .LBB11_5
; %bb.4:
	v_mad_u64_u32 v[9:10], s[16:17], v1, s33, v[4:5]
	s_load_dwordx2 s[16:17], s[4:5], 0x30
	v_ashrrev_i32_e32 v10, 31, v9
	v_lshlrev_b64 v[9:10], 2, v[9:10]
	s_waitcnt lgkmcnt(0)
	v_mov_b32_e32 v6, s17
	v_add_co_u32_e32 v9, vcc, s16, v9
	v_addc_co_u32_e32 v10, vcc, v6, v10, vcc
	global_load_dword v6, v[9:10], off
.LBB11_5:
	s_or_b64 exec, exec, s[6:7]
	s_load_dwordx2 s[20:21], s[4:5], 0x50
	s_waitcnt vmcnt(0)
	v_mul_f32_e32 v10, s2, v6
	v_lshlrev_b32_e32 v9, 12, v5
	v_cmp_lt_i32_e32 vcc, v7, v8
	v_mov_b32_e32 v6, s3
	s_and_saveexec_b64 s[22:23], vcc
	s_cbranch_execz .LBB11_30
; %bb.6:
	v_mov_b32_e32 v6, 0x2000
	v_lshl_or_b32 v11, v5, 7, v6
	v_subrev_u32_e32 v5, s8, v7
	v_and_b32_e32 v0, 31, v0
	v_mad_u64_u32 v[6:7], s[6:7], s33, v5, v[0:1]
	s_load_dwordx4 s[16:19], s[4:5], 0x18
	v_lshrrev_b32_e32 v13, 5, v4
	v_mul_lo_u32 v16, s33, v6
	v_lshlrev_b32_e32 v7, 2, v4
	s_cmp_lg_u32 s10, 0
	v_add_u32_e32 v14, v11, v7
	v_add_u32_e32 v15, v9, v7
	v_lshlrev_b32_e32 v6, 7, v13
	v_lshlrev_b32_e32 v7, 2, v0
	v_subrev_u32_e32 v12, s8, v8
	v_cmp_gt_i32_e64 s[2:3], s33, v0
	s_cselect_b64 s[10:11], -1, 0
	v_cmp_gt_u32_e64 s[4:5], 32, v4
	s_mul_i32 s34, s33, s33
	v_add3_u32 v17, v9, v6, v7
	s_mov_b64 s[24:25], 0
	s_waitcnt lgkmcnt(0)
	v_mov_b32_e32 v18, s17
	v_add_u32_e32 v19, 0x400, v15
	v_add_u32_e32 v20, 0x800, v15
	;; [unrolled: 1-line block ×3, first 2 shown]
	s_branch .LBB11_9
.LBB11_7:                               ;   in Loop: Header=BB11_9 Depth=1
	s_or_b64 exec, exec, s[6:7]
.LBB11_8:                               ;   in Loop: Header=BB11_9 Depth=1
	s_or_b64 exec, exec, s[26:27]
	v_add_u32_e32 v5, 1, v5
	v_cmp_ge_i32_e64 s[6:7], v5, v12
	s_xor_b64 s[26:27], vcc, -1
	s_or_b64 s[6:7], s[26:27], s[6:7]
	s_and_b64 s[6:7], exec, s[6:7]
	s_or_b64 s[24:25], s[6:7], s[24:25]
	v_add_u32_e32 v16, s34, v16
	s_andn2_b64 exec, exec, s[24:25]
	s_cbranch_execz .LBB11_29
.LBB11_9:                               ; =>This Loop Header: Depth=1
                                        ;     Child Loop BB11_12 Depth 2
                                        ;     Child Loop BB11_21 Depth 2
                                        ;       Child Loop BB11_22 Depth 3
	v_ashrrev_i32_e32 v6, 31, v5
	v_lshlrev_b64 v[6:7], 2, v[5:6]
	v_mul_lo_u32 v22, v5, s33
	v_add_co_u32_e32 v6, vcc, s16, v6
	v_addc_co_u32_e32 v7, vcc, v18, v7, vcc
	global_load_dword v8, v[6:7], off
	s_mov_b64 s[6:7], 0
	v_mov_b32_e32 v23, v17
	v_mov_b32_e32 v24, v13
	s_branch .LBB11_12
.LBB11_10:                              ;   in Loop: Header=BB11_12 Depth=2
	v_ashrrev_i32_e32 v7, 31, v6
	v_lshlrev_b64 v[6:7], 2, v[6:7]
	v_mov_b32_e32 v25, s19
	v_add_co_u32_e32 v6, vcc, s18, v6
	v_addc_co_u32_e32 v7, vcc, v25, v7, vcc
	global_load_dword v6, v[6:7], off
.LBB11_11:                              ;   in Loop: Header=BB11_12 Depth=2
	s_or_b64 exec, exec, s[26:27]
	s_waitcnt vmcnt(0)
	ds_write_b32 v23, v6
	v_add_u32_e32 v6, 2, v24
	v_cmp_lt_u32_e32 vcc, 29, v24
	v_add_u32_e32 v23, 0x100, v23
	s_or_b64 s[6:7], vcc, s[6:7]
	v_mov_b32_e32 v24, v6
	s_andn2_b64 exec, exec, s[6:7]
	s_cbranch_execz .LBB11_17
.LBB11_12:                              ;   Parent Loop BB11_9 Depth=1
                                        ; =>  This Inner Loop Header: Depth=2
	v_cmp_gt_i32_e32 vcc, s33, v24
	s_and_b64 s[28:29], s[2:3], vcc
	v_mov_b32_e32 v6, 0
	s_and_saveexec_b64 s[26:27], s[28:29]
	s_cbranch_execz .LBB11_11
; %bb.13:                               ;   in Loop: Header=BB11_12 Depth=2
	s_and_b64 vcc, exec, s[10:11]
	s_cbranch_vccz .LBB11_15
; %bb.14:                               ;   in Loop: Header=BB11_12 Depth=2
	v_add_u32_e32 v6, v24, v22
	v_mad_u64_u32 v[6:7], s[28:29], v6, s33, v[0:1]
	s_cbranch_execnz .LBB11_10
	s_branch .LBB11_16
.LBB11_15:                              ;   in Loop: Header=BB11_12 Depth=2
                                        ; implicit-def: $vgpr6
.LBB11_16:                              ;   in Loop: Header=BB11_12 Depth=2
	v_add_u32_e32 v6, v16, v24
	s_branch .LBB11_10
.LBB11_17:                              ;   in Loop: Header=BB11_9 Depth=1
	s_or_b64 exec, exec, s[6:7]
	v_subrev_u32_e32 v6, s8, v8
	v_cmp_lt_i32_e32 vcc, v6, v1
	s_and_saveexec_b64 s[26:27], vcc
	s_cbranch_execz .LBB11_8
; %bb.18:                               ;   in Loop: Header=BB11_9 Depth=1
	v_ashrrev_i32_e32 v7, 31, v6
	v_lshlrev_b64 v[7:8], 2, v[6:7]
	v_mov_b32_e32 v22, s15
	v_add_co_u32_e64 v7, s[6:7], s14, v7
	v_addc_co_u32_e64 v8, s[6:7], v22, v8, s[6:7]
	global_load_dword v22, v[7:8], off glc
	s_waitcnt vmcnt(0)
	v_cmp_eq_u32_e64 s[6:7], 0, v22
	s_and_saveexec_b64 s[28:29], s[6:7]
	s_cbranch_execz .LBB11_23
; %bb.19:                               ;   in Loop: Header=BB11_9 Depth=1
	s_mov_b32 s17, 0
	s_mov_b64 s[30:31], 0
	s_branch .LBB11_21
.LBB11_20:                              ;   in Loop: Header=BB11_21 Depth=2
	global_load_dword v22, v[7:8], off glc
	s_cmpk_lt_u32 s17, 0xf43
	s_cselect_b64 s[6:7], -1, 0
	s_cmp_lg_u64 s[6:7], 0
	s_addc_u32 s17, s17, 0
	s_waitcnt vmcnt(0)
	v_cmp_ne_u32_e64 s[6:7], 0, v22
	s_or_b64 s[30:31], s[6:7], s[30:31]
	s_andn2_b64 exec, exec, s[30:31]
	s_cbranch_execz .LBB11_23
.LBB11_21:                              ;   Parent Loop BB11_9 Depth=1
                                        ; =>  This Loop Header: Depth=2
                                        ;       Child Loop BB11_22 Depth 3
	s_cmp_eq_u32 s17, 0
	s_mov_b32 s6, s17
	s_cbranch_scc1 .LBB11_20
.LBB11_22:                              ;   Parent Loop BB11_9 Depth=1
                                        ;     Parent Loop BB11_21 Depth=2
                                        ; =>    This Inner Loop Header: Depth=3
	s_add_i32 s6, s6, -1
	s_cmp_eq_u32 s6, 0
	s_sleep 1
	s_cbranch_scc0 .LBB11_22
	s_branch .LBB11_20
.LBB11_23:                              ;   in Loop: Header=BB11_9 Depth=1
	s_or_b64 exec, exec, s[28:29]
	s_waitcnt lgkmcnt(0)
	buffer_wbinvl1_vol
	s_and_saveexec_b64 s[28:29], s[4:5]
	s_cbranch_execz .LBB11_27
; %bb.24:                               ;   in Loop: Header=BB11_9 Depth=1
	v_mov_b32_e32 v7, 0
	s_and_saveexec_b64 s[30:31], s[0:1]
	s_cbranch_execz .LBB11_26
; %bb.25:                               ;   in Loop: Header=BB11_9 Depth=1
	v_mad_u64_u32 v[7:8], s[6:7], v6, s33, v[4:5]
	v_mov_b32_e32 v22, s13
	v_ashrrev_i32_e32 v8, 31, v7
	v_lshlrev_b64 v[7:8], 2, v[7:8]
	v_add_co_u32_e64 v7, s[6:7], s12, v7
	v_addc_co_u32_e64 v8, s[6:7], v22, v8, s[6:7]
	global_load_dword v7, v[7:8], off
.LBB11_26:                              ;   in Loop: Header=BB11_9 Depth=1
	s_or_b64 exec, exec, s[30:31]
	s_waitcnt vmcnt(0)
	ds_write_b32 v14, v7
.LBB11_27:                              ;   in Loop: Header=BB11_9 Depth=1
	s_or_b64 exec, exec, s[28:29]
	s_waitcnt lgkmcnt(0)
	s_and_saveexec_b64 s[6:7], s[0:1]
	s_cbranch_execz .LBB11_7
; %bb.28:                               ;   in Loop: Header=BB11_9 Depth=1
	ds_read2_b32 v[7:8], v15 offset1:32
	ds_read_b128 v[22:25], v11
	ds_read_b128 v[26:29], v11 offset:16
	ds_read2_b32 v[38:39], v15 offset0:64 offset1:96
	ds_read_b128 v[30:33], v11 offset:32
	ds_read_b128 v[34:37], v11 offset:48
	s_waitcnt lgkmcnt(4)
	v_fma_f32 v7, -v7, v22, v10
	ds_read2_b32 v[40:41], v15 offset0:128 offset1:160
	v_fma_f32 v7, -v8, v23, v7
	s_waitcnt lgkmcnt(3)
	v_fma_f32 v10, -v38, v24, v7
	ds_read2_b32 v[7:8], v15 offset0:192 offset1:224
	v_fma_f32 v10, -v39, v25, v10
	ds_read2_b32 v[22:23], v19 offset1:32
	s_waitcnt lgkmcnt(2)
	v_fma_f32 v10, -v40, v26, v10
	v_fma_f32 v10, -v41, v27, v10
	s_waitcnt lgkmcnt(1)
	v_fma_f32 v7, -v7, v28, v10
	ds_read2_b32 v[24:25], v19 offset0:64 offset1:96
	v_fma_f32 v7, -v8, v29, v7
	s_waitcnt lgkmcnt(1)
	v_fma_f32 v10, -v22, v30, v7
	ds_read2_b32 v[7:8], v19 offset0:128 offset1:160
	v_fma_f32 v10, -v23, v31, v10
	s_waitcnt lgkmcnt(1)
	v_fma_f32 v10, -v24, v32, v10
	ds_read2_b32 v[26:27], v19 offset0:192 offset1:224
	v_fma_f32 v10, -v25, v33, v10
	s_waitcnt lgkmcnt(1)
	v_fma_f32 v7, -v7, v34, v10
	v_fma_f32 v10, -v8, v35, v7
	ds_read2_b32 v[7:8], v20 offset1:32
	ds_read_b128 v[22:25], v11 offset:64
	s_waitcnt lgkmcnt(2)
	v_fma_f32 v10, -v26, v36, v10
	v_fma_f32 v10, -v27, v37, v10
	ds_read2_b32 v[30:31], v20 offset0:64 offset1:96
	ds_read_b128 v[26:29], v11 offset:80
	ds_read2_b32 v[32:33], v20 offset0:128 offset1:160
	s_waitcnt lgkmcnt(3)
	v_fma_f32 v7, -v7, v22, v10
	v_fma_f32 v7, -v8, v23, v7
	s_waitcnt lgkmcnt(2)
	v_fma_f32 v7, -v30, v24, v7
	v_fma_f32 v10, -v31, v25, v7
	ds_read2_b32 v[7:8], v20 offset0:192 offset1:224
	s_waitcnt lgkmcnt(1)
	v_fma_f32 v10, -v32, v26, v10
	ds_read2_b32 v[30:31], v21 offset1:32
	ds_read_b128 v[22:25], v11 offset:96
	v_fma_f32 v10, -v33, v27, v10
	s_waitcnt lgkmcnt(2)
	v_fma_f32 v7, -v7, v28, v10
	v_fma_f32 v10, -v8, v29, v7
	ds_read2_b32 v[7:8], v21 offset0:64 offset1:96
	ds_read_b128 v[26:29], v11 offset:112
	ds_read2_b32 v[32:33], v21 offset0:128 offset1:160
	s_waitcnt lgkmcnt(3)
	v_fma_f32 v10, -v30, v22, v10
	v_fma_f32 v10, -v31, v23, v10
	ds_read2_b32 v[22:23], v21 offset0:192 offset1:224
	s_waitcnt lgkmcnt(3)
	v_fma_f32 v7, -v7, v24, v10
	v_fma_f32 v7, -v8, v25, v7
	s_waitcnt lgkmcnt(1)
	v_fma_f32 v7, -v32, v26, v7
	v_fma_f32 v7, -v33, v27, v7
	s_waitcnt lgkmcnt(0)
	v_fma_f32 v7, -v22, v28, v7
	v_fma_f32 v10, -v23, v29, v7
	s_branch .LBB11_7
.LBB11_29:
	s_or_b64 exec, exec, s[24:25]
.LBB11_30:
	s_or_b64 exec, exec, s[22:23]
	s_cmp_gt_i32 s33, 0
	v_cmp_eq_u32_e32 vcc, v6, v1
	s_cselect_b64 s[2:3], -1, 0
	s_mov_b32 s22, 0
	s_and_b64 s[4:5], s[2:3], vcc
	s_mov_b64 s[2:3], 0
	s_and_saveexec_b64 s[6:7], s[4:5]
	s_cbranch_execnz .LBB11_34
; %bb.31:
	s_or_b64 exec, exec, s[6:7]
	s_and_saveexec_b64 s[4:5], s[0:1]
	s_cbranch_execnz .LBB11_45
.LBB11_32:
	s_or_b64 exec, exec, s[4:5]
	v_cmp_eq_u32_e32 vcc, 0, v4
	s_and_b64 exec, exec, vcc
	s_cbranch_execnz .LBB11_46
.LBB11_33:
	s_endpgm
.LBB11_34:
	s_cmp_eq_u32 s9, 0
	v_mbcnt_lo_u32_b32 v0, -1, 0
	s_cselect_b64 s[2:3], -1, 0
	v_mbcnt_hi_u32_b32 v0, -1, v0
	v_cndmask_b32_e64 v6, 0, 1, s[2:3]
	v_and_b32_e32 v0, 64, v0
	v_lshl_add_u32 v5, v4, 2, v9
	s_mov_b64 s[10:11], 0
	v_cmp_ne_u32_e64 s[2:3], 1, v6
	s_branch .LBB11_37
.LBB11_35:                              ;   in Loop: Header=BB11_37 Depth=1
	s_or_b64 exec, exec, s[18:19]
.LBB11_36:                              ;   in Loop: Header=BB11_37 Depth=1
	s_or_b64 exec, exec, s[16:17]
	s_or_b64 s[10:11], s[4:5], s[10:11]
	s_add_i32 s22, s22, 1
	v_add_u32_e32 v5, 0x80, v5
	s_cmp_lg_u32 s33, s22
	v_add_u32_e32 v9, 0x84, v9
	s_cbranch_scc0 .LBB11_44
.LBB11_37:                              ; =>This Inner Loop Header: Depth=1
	s_and_b64 vcc, exec, s[2:3]
	v_mov_b32_e32 v6, 1.0
	s_cbranch_vccnz .LBB11_39
; %bb.38:                               ;   in Loop: Header=BB11_37 Depth=1
	ds_read_b32 v6, v9
.LBB11_39:                              ;   in Loop: Header=BB11_37 Depth=1
	v_and_or_b32 v7, s22, 63, v0
	v_lshlrev_b32_e32 v7, 2, v7
	ds_bpermute_b32 v7, v7, v10
	s_waitcnt lgkmcnt(0)
	v_cmp_eq_f32_e64 s[4:5], 0, v6
	s_and_saveexec_b64 s[16:17], s[0:1]
	s_cbranch_execz .LBB11_36
; %bb.40:                               ;   in Loop: Header=BB11_37 Depth=1
	v_div_scale_f32 v8, s[18:19], v6, v6, v7
	v_div_scale_f32 v11, vcc, v7, v6, v7
	v_rcp_f32_e32 v12, v8
	v_fma_f32 v13, -v8, v12, 1.0
	v_fmac_f32_e32 v12, v13, v12
	v_mul_f32_e32 v13, v11, v12
	v_fma_f32 v14, -v8, v13, v11
	v_fmac_f32_e32 v13, v14, v12
	v_fma_f32 v8, -v8, v13, v11
	v_div_fmas_f32 v8, v8, v12, v13
	v_cmp_ge_u32_e32 vcc, s22, v4
	v_div_fixup_f32 v6, v8, v6, v7
	v_cndmask_b32_e64 v6, v6, v7, s[4:5]
	s_and_saveexec_b64 s[18:19], vcc
	s_xor_b64 s[18:19], exec, s[18:19]
; %bb.41:                               ;   in Loop: Header=BB11_37 Depth=1
	v_cmp_eq_u32_e32 vcc, s22, v4
	v_cndmask_b32_e32 v10, v10, v6, vcc
                                        ; implicit-def: $vgpr6
; %bb.42:                               ;   in Loop: Header=BB11_37 Depth=1
	s_andn2_saveexec_b64 s[18:19], s[18:19]
	s_cbranch_execz .LBB11_35
; %bb.43:                               ;   in Loop: Header=BB11_37 Depth=1
	ds_read_b32 v7, v5
	s_waitcnt lgkmcnt(0)
	v_fma_f32 v10, -v6, v7, v10
	s_branch .LBB11_35
.LBB11_44:
	s_and_b64 s[2:3], s[10:11], exec
	s_or_b64 exec, exec, s[6:7]
	s_and_saveexec_b64 s[4:5], s[0:1]
	s_cbranch_execz .LBB11_32
.LBB11_45:
	v_mad_u64_u32 v[5:6], s[0:1], v1, s33, v[4:5]
	v_mov_b32_e32 v0, s13
	v_ashrrev_i32_e32 v6, 31, v5
	v_lshlrev_b64 v[5:6], 2, v[5:6]
	v_add_co_u32_e32 v5, vcc, s12, v5
	v_addc_co_u32_e32 v6, vcc, v0, v6, vcc
	global_store_dword v[5:6], v10, off
	s_or_b64 exec, exec, s[4:5]
	v_cmp_eq_u32_e32 vcc, 0, v4
	s_and_b64 exec, exec, vcc
	s_cbranch_execz .LBB11_33
.LBB11_46:
	v_mov_b32_e32 v0, s15
	v_add_co_u32_e32 v2, vcc, s14, v2
	v_addc_co_u32_e32 v3, vcc, v0, v3, vcc
	v_mov_b32_e32 v0, 1
	s_waitcnt vmcnt(0) lgkmcnt(0)
	global_store_dword v[2:3], v0, off
	s_and_b64 exec, exec, s[2:3]
	s_cbranch_execz .LBB11_33
; %bb.47:
	s_mov_b64 s[0:1], exec
	v_add_u32_e32 v0, s8, v1
	s_brev_b32 s2, -2
.LBB11_48:                              ; =>This Inner Loop Header: Depth=1
	s_ff1_i32_b64 s3, s[0:1]
	v_readlane_b32 s6, v0, s3
	s_lshl_b64 s[4:5], 1, s3
	s_min_i32 s2, s2, s6
	s_andn2_b64 s[0:1], s[0:1], s[4:5]
	s_cmp_lg_u64 s[0:1], 0
	s_cbranch_scc1 .LBB11_48
; %bb.49:
	v_mbcnt_lo_u32_b32 v0, exec_lo, 0
	v_mbcnt_hi_u32_b32 v0, exec_hi, v0
	v_cmp_eq_u32_e32 vcc, 0, v0
	s_and_saveexec_b64 s[0:1], vcc
	s_xor_b64 s[0:1], exec, s[0:1]
	s_cbranch_execz .LBB11_33
; %bb.50:
	v_mov_b32_e32 v0, 0
	v_mov_b32_e32 v1, s2
	global_atomic_smin v0, v1, s[20:21]
	s_endpgm
	.section	.rodata,"a",@progbits
	.p2align	6, 0x0
	.amdhsa_kernel _ZN9rocsparseL18bsrsv_lower_sharedILj128ELj64ELi32ELb1EfEEviNS_24const_host_device_scalarIT3_EEPKiS5_PKS2_iS7_PS2_PiS9_S9_21rocsparse_index_base_20rocsparse_diag_type_20rocsparse_direction_b
		.amdhsa_group_segment_fixed_size 8448
		.amdhsa_private_segment_fixed_size 0
		.amdhsa_kernarg_size 104
		.amdhsa_user_sgpr_count 6
		.amdhsa_user_sgpr_private_segment_buffer 1
		.amdhsa_user_sgpr_dispatch_ptr 0
		.amdhsa_user_sgpr_queue_ptr 0
		.amdhsa_user_sgpr_kernarg_segment_ptr 1
		.amdhsa_user_sgpr_dispatch_id 0
		.amdhsa_user_sgpr_flat_scratch_init 0
		.amdhsa_user_sgpr_private_segment_size 0
		.amdhsa_uses_dynamic_stack 0
		.amdhsa_system_sgpr_private_segment_wavefront_offset 0
		.amdhsa_system_sgpr_workgroup_id_x 1
		.amdhsa_system_sgpr_workgroup_id_y 0
		.amdhsa_system_sgpr_workgroup_id_z 0
		.amdhsa_system_sgpr_workgroup_info 0
		.amdhsa_system_vgpr_workitem_id 0
		.amdhsa_next_free_vgpr 49
		.amdhsa_next_free_sgpr 98
		.amdhsa_reserve_vcc 1
		.amdhsa_reserve_flat_scratch 0
		.amdhsa_float_round_mode_32 0
		.amdhsa_float_round_mode_16_64 0
		.amdhsa_float_denorm_mode_32 3
		.amdhsa_float_denorm_mode_16_64 3
		.amdhsa_dx10_clamp 1
		.amdhsa_ieee_mode 1
		.amdhsa_fp16_overflow 0
		.amdhsa_exception_fp_ieee_invalid_op 0
		.amdhsa_exception_fp_denorm_src 0
		.amdhsa_exception_fp_ieee_div_zero 0
		.amdhsa_exception_fp_ieee_overflow 0
		.amdhsa_exception_fp_ieee_underflow 0
		.amdhsa_exception_fp_ieee_inexact 0
		.amdhsa_exception_int_div_zero 0
	.end_amdhsa_kernel
	.section	.text._ZN9rocsparseL18bsrsv_lower_sharedILj128ELj64ELi32ELb1EfEEviNS_24const_host_device_scalarIT3_EEPKiS5_PKS2_iS7_PS2_PiS9_S9_21rocsparse_index_base_20rocsparse_diag_type_20rocsparse_direction_b,"axG",@progbits,_ZN9rocsparseL18bsrsv_lower_sharedILj128ELj64ELi32ELb1EfEEviNS_24const_host_device_scalarIT3_EEPKiS5_PKS2_iS7_PS2_PiS9_S9_21rocsparse_index_base_20rocsparse_diag_type_20rocsparse_direction_b,comdat
.Lfunc_end11:
	.size	_ZN9rocsparseL18bsrsv_lower_sharedILj128ELj64ELi32ELb1EfEEviNS_24const_host_device_scalarIT3_EEPKiS5_PKS2_iS7_PS2_PiS9_S9_21rocsparse_index_base_20rocsparse_diag_type_20rocsparse_direction_b, .Lfunc_end11-_ZN9rocsparseL18bsrsv_lower_sharedILj128ELj64ELi32ELb1EfEEviNS_24const_host_device_scalarIT3_EEPKiS5_PKS2_iS7_PS2_PiS9_S9_21rocsparse_index_base_20rocsparse_diag_type_20rocsparse_direction_b
                                        ; -- End function
	.set _ZN9rocsparseL18bsrsv_lower_sharedILj128ELj64ELi32ELb1EfEEviNS_24const_host_device_scalarIT3_EEPKiS5_PKS2_iS7_PS2_PiS9_S9_21rocsparse_index_base_20rocsparse_diag_type_20rocsparse_direction_b.num_vgpr, 42
	.set _ZN9rocsparseL18bsrsv_lower_sharedILj128ELj64ELi32ELb1EfEEviNS_24const_host_device_scalarIT3_EEPKiS5_PKS2_iS7_PS2_PiS9_S9_21rocsparse_index_base_20rocsparse_diag_type_20rocsparse_direction_b.num_agpr, 0
	.set _ZN9rocsparseL18bsrsv_lower_sharedILj128ELj64ELi32ELb1EfEEviNS_24const_host_device_scalarIT3_EEPKiS5_PKS2_iS7_PS2_PiS9_S9_21rocsparse_index_base_20rocsparse_diag_type_20rocsparse_direction_b.numbered_sgpr, 35
	.set _ZN9rocsparseL18bsrsv_lower_sharedILj128ELj64ELi32ELb1EfEEviNS_24const_host_device_scalarIT3_EEPKiS5_PKS2_iS7_PS2_PiS9_S9_21rocsparse_index_base_20rocsparse_diag_type_20rocsparse_direction_b.num_named_barrier, 0
	.set _ZN9rocsparseL18bsrsv_lower_sharedILj128ELj64ELi32ELb1EfEEviNS_24const_host_device_scalarIT3_EEPKiS5_PKS2_iS7_PS2_PiS9_S9_21rocsparse_index_base_20rocsparse_diag_type_20rocsparse_direction_b.private_seg_size, 0
	.set _ZN9rocsparseL18bsrsv_lower_sharedILj128ELj64ELi32ELb1EfEEviNS_24const_host_device_scalarIT3_EEPKiS5_PKS2_iS7_PS2_PiS9_S9_21rocsparse_index_base_20rocsparse_diag_type_20rocsparse_direction_b.uses_vcc, 1
	.set _ZN9rocsparseL18bsrsv_lower_sharedILj128ELj64ELi32ELb1EfEEviNS_24const_host_device_scalarIT3_EEPKiS5_PKS2_iS7_PS2_PiS9_S9_21rocsparse_index_base_20rocsparse_diag_type_20rocsparse_direction_b.uses_flat_scratch, 0
	.set _ZN9rocsparseL18bsrsv_lower_sharedILj128ELj64ELi32ELb1EfEEviNS_24const_host_device_scalarIT3_EEPKiS5_PKS2_iS7_PS2_PiS9_S9_21rocsparse_index_base_20rocsparse_diag_type_20rocsparse_direction_b.has_dyn_sized_stack, 0
	.set _ZN9rocsparseL18bsrsv_lower_sharedILj128ELj64ELi32ELb1EfEEviNS_24const_host_device_scalarIT3_EEPKiS5_PKS2_iS7_PS2_PiS9_S9_21rocsparse_index_base_20rocsparse_diag_type_20rocsparse_direction_b.has_recursion, 0
	.set _ZN9rocsparseL18bsrsv_lower_sharedILj128ELj64ELi32ELb1EfEEviNS_24const_host_device_scalarIT3_EEPKiS5_PKS2_iS7_PS2_PiS9_S9_21rocsparse_index_base_20rocsparse_diag_type_20rocsparse_direction_b.has_indirect_call, 0
	.section	.AMDGPU.csdata,"",@progbits
; Kernel info:
; codeLenInByte = 2056
; TotalNumSgprs: 39
; NumVgprs: 42
; ScratchSize: 0
; MemoryBound: 0
; FloatMode: 240
; IeeeMode: 1
; LDSByteSize: 8448 bytes/workgroup (compile time only)
; SGPRBlocks: 12
; VGPRBlocks: 12
; NumSGPRsForWavesPerEU: 102
; NumVGPRsForWavesPerEU: 49
; Occupancy: 4
; WaveLimiterHint : 1
; COMPUTE_PGM_RSRC2:SCRATCH_EN: 0
; COMPUTE_PGM_RSRC2:USER_SGPR: 6
; COMPUTE_PGM_RSRC2:TRAP_HANDLER: 0
; COMPUTE_PGM_RSRC2:TGID_X_EN: 1
; COMPUTE_PGM_RSRC2:TGID_Y_EN: 0
; COMPUTE_PGM_RSRC2:TGID_Z_EN: 0
; COMPUTE_PGM_RSRC2:TIDIG_COMP_CNT: 0
	.section	.text._ZN9rocsparseL18bsrsv_lower_sharedILj128ELj64ELi32ELb0EfEEviNS_24const_host_device_scalarIT3_EEPKiS5_PKS2_iS7_PS2_PiS9_S9_21rocsparse_index_base_20rocsparse_diag_type_20rocsparse_direction_b,"axG",@progbits,_ZN9rocsparseL18bsrsv_lower_sharedILj128ELj64ELi32ELb0EfEEviNS_24const_host_device_scalarIT3_EEPKiS5_PKS2_iS7_PS2_PiS9_S9_21rocsparse_index_base_20rocsparse_diag_type_20rocsparse_direction_b,comdat
	.globl	_ZN9rocsparseL18bsrsv_lower_sharedILj128ELj64ELi32ELb0EfEEviNS_24const_host_device_scalarIT3_EEPKiS5_PKS2_iS7_PS2_PiS9_S9_21rocsparse_index_base_20rocsparse_diag_type_20rocsparse_direction_b ; -- Begin function _ZN9rocsparseL18bsrsv_lower_sharedILj128ELj64ELi32ELb0EfEEviNS_24const_host_device_scalarIT3_EEPKiS5_PKS2_iS7_PS2_PiS9_S9_21rocsparse_index_base_20rocsparse_diag_type_20rocsparse_direction_b
	.p2align	8
	.type	_ZN9rocsparseL18bsrsv_lower_sharedILj128ELj64ELi32ELb0EfEEviNS_24const_host_device_scalarIT3_EEPKiS5_PKS2_iS7_PS2_PiS9_S9_21rocsparse_index_base_20rocsparse_diag_type_20rocsparse_direction_b,@function
_ZN9rocsparseL18bsrsv_lower_sharedILj128ELj64ELi32ELb0EfEEviNS_24const_host_device_scalarIT3_EEPKiS5_PKS2_iS7_PS2_PiS9_S9_21rocsparse_index_base_20rocsparse_diag_type_20rocsparse_direction_b: ; @_ZN9rocsparseL18bsrsv_lower_sharedILj128ELj64ELi32ELb0EfEEviNS_24const_host_device_scalarIT3_EEPKiS5_PKS2_iS7_PS2_PiS9_S9_21rocsparse_index_base_20rocsparse_diag_type_20rocsparse_direction_b
; %bb.0:
	s_load_dwordx4 s[8:11], s[4:5], 0x58
	s_load_dwordx2 s[2:3], s[4:5], 0x8
	s_waitcnt lgkmcnt(0)
	s_bitcmp1_b32 s11, 0
	s_cselect_b64 s[0:1], -1, 0
	s_and_b64 vcc, exec, s[0:1]
	s_cbranch_vccnz .LBB12_2
; %bb.1:
	s_load_dword s2, s[2:3], 0x0
.LBB12_2:
	s_nop 0
	s_load_dword s3, s[4:5], 0x0
	s_lshl_b32 s0, s6, 1
	v_lshrrev_b32_e32 v5, 6, v0
	s_and_b32 s0, s0, 0x3fffffe
	v_or_b32_e32 v1, s0, v5
	s_waitcnt lgkmcnt(0)
	v_cmp_gt_i32_e32 vcc, s3, v1
	s_and_saveexec_b64 s[0:1], vcc
	s_cbranch_execz .LBB12_31
; %bb.3:
	s_load_dwordx2 s[0:1], s[4:5], 0x48
	s_load_dwordx4 s[12:15], s[4:5], 0x38
	v_lshlrev_b32_e32 v1, 2, v1
	s_waitcnt lgkmcnt(0)
	global_load_dword v1, v1, s[0:1]
	s_load_dwordx2 s[0:1], s[4:5], 0x10
	s_load_dword s33, s[4:5], 0x28
	s_waitcnt lgkmcnt(0)
	v_mov_b32_e32 v4, s1
	s_waitcnt vmcnt(0)
	v_ashrrev_i32_e32 v2, 31, v1
	v_lshlrev_b64 v[2:3], 2, v[1:2]
	v_add_co_u32_e32 v6, vcc, s0, v2
	v_addc_co_u32_e32 v7, vcc, v4, v3, vcc
	global_load_dwordx2 v[7:8], v[6:7], off
	v_and_b32_e32 v4, 63, v0
	v_cmp_gt_i32_e64 s[0:1], s33, v4
	v_mov_b32_e32 v6, 0
	s_and_saveexec_b64 s[6:7], s[0:1]
	s_cbranch_execz .LBB12_5
; %bb.4:
	v_mad_u64_u32 v[9:10], s[16:17], v1, s33, v[4:5]
	s_load_dwordx2 s[16:17], s[4:5], 0x30
	v_ashrrev_i32_e32 v10, 31, v9
	v_lshlrev_b64 v[9:10], 2, v[9:10]
	s_waitcnt lgkmcnt(0)
	v_mov_b32_e32 v6, s17
	v_add_co_u32_e32 v9, vcc, s16, v9
	v_addc_co_u32_e32 v10, vcc, v6, v10, vcc
	global_load_dword v6, v[9:10], off
.LBB12_5:
	s_or_b64 exec, exec, s[6:7]
	s_load_dwordx2 s[20:21], s[4:5], 0x50
	s_waitcnt vmcnt(0)
	v_mul_f32_e32 v10, s2, v6
	v_lshlrev_b32_e32 v9, 12, v5
	v_cmp_lt_i32_e32 vcc, v7, v8
	v_mov_b32_e32 v6, s3
	s_and_saveexec_b64 s[22:23], vcc
	s_cbranch_execz .LBB12_28
; %bb.6:
	v_mov_b32_e32 v6, 0x2000
	v_lshl_or_b32 v11, v5, 7, v6
	v_subrev_u32_e32 v5, s8, v7
	v_and_b32_e32 v0, 31, v0
	v_mad_u64_u32 v[6:7], s[6:7], s33, v5, v[0:1]
	s_load_dwordx4 s[16:19], s[4:5], 0x18
	v_lshrrev_b32_e32 v13, 5, v4
	v_mul_lo_u32 v16, s33, v6
	v_lshlrev_b32_e32 v7, 2, v4
	s_cmp_lg_u32 s10, 0
	v_add_u32_e32 v14, v11, v7
	v_add_u32_e32 v15, v9, v7
	v_lshlrev_b32_e32 v6, 7, v13
	v_lshlrev_b32_e32 v7, 2, v0
	v_subrev_u32_e32 v12, s8, v8
	v_cmp_gt_i32_e64 s[2:3], s33, v0
	s_cselect_b64 s[10:11], -1, 0
	v_cmp_gt_u32_e64 s[4:5], 32, v4
	s_mul_i32 s34, s33, s33
	v_add3_u32 v17, v9, v6, v7
	s_mov_b64 s[24:25], 0
	s_waitcnt lgkmcnt(0)
	v_mov_b32_e32 v18, s17
	v_add_u32_e32 v19, 0x400, v15
	v_add_u32_e32 v20, 0x800, v15
	;; [unrolled: 1-line block ×3, first 2 shown]
	s_branch .LBB12_9
.LBB12_7:                               ;   in Loop: Header=BB12_9 Depth=1
	s_or_b64 exec, exec, s[6:7]
.LBB12_8:                               ;   in Loop: Header=BB12_9 Depth=1
	s_or_b64 exec, exec, s[26:27]
	v_add_u32_e32 v5, 1, v5
	v_cmp_ge_i32_e64 s[6:7], v5, v12
	s_xor_b64 s[26:27], vcc, -1
	s_or_b64 s[6:7], s[26:27], s[6:7]
	s_and_b64 s[6:7], exec, s[6:7]
	s_or_b64 s[24:25], s[6:7], s[24:25]
	v_add_u32_e32 v16, s34, v16
	s_andn2_b64 exec, exec, s[24:25]
	s_cbranch_execz .LBB12_27
.LBB12_9:                               ; =>This Loop Header: Depth=1
                                        ;     Child Loop BB12_12 Depth 2
                                        ;     Child Loop BB12_20 Depth 2
	v_ashrrev_i32_e32 v6, 31, v5
	v_lshlrev_b64 v[6:7], 2, v[5:6]
	v_mul_lo_u32 v22, v5, s33
	v_add_co_u32_e32 v6, vcc, s16, v6
	v_addc_co_u32_e32 v7, vcc, v18, v7, vcc
	global_load_dword v8, v[6:7], off
	s_mov_b64 s[6:7], 0
	v_mov_b32_e32 v23, v17
	v_mov_b32_e32 v24, v13
	s_branch .LBB12_12
.LBB12_10:                              ;   in Loop: Header=BB12_12 Depth=2
	v_ashrrev_i32_e32 v7, 31, v6
	v_lshlrev_b64 v[6:7], 2, v[6:7]
	v_mov_b32_e32 v25, s19
	v_add_co_u32_e32 v6, vcc, s18, v6
	v_addc_co_u32_e32 v7, vcc, v25, v7, vcc
	global_load_dword v6, v[6:7], off
.LBB12_11:                              ;   in Loop: Header=BB12_12 Depth=2
	s_or_b64 exec, exec, s[26:27]
	s_waitcnt vmcnt(0)
	ds_write_b32 v23, v6
	v_add_u32_e32 v6, 2, v24
	v_cmp_lt_u32_e32 vcc, 29, v24
	v_add_u32_e32 v23, 0x100, v23
	s_or_b64 s[6:7], vcc, s[6:7]
	v_mov_b32_e32 v24, v6
	s_andn2_b64 exec, exec, s[6:7]
	s_cbranch_execz .LBB12_17
.LBB12_12:                              ;   Parent Loop BB12_9 Depth=1
                                        ; =>  This Inner Loop Header: Depth=2
	v_cmp_gt_i32_e32 vcc, s33, v24
	s_and_b64 s[28:29], s[2:3], vcc
	v_mov_b32_e32 v6, 0
	s_and_saveexec_b64 s[26:27], s[28:29]
	s_cbranch_execz .LBB12_11
; %bb.13:                               ;   in Loop: Header=BB12_12 Depth=2
	s_and_b64 vcc, exec, s[10:11]
	s_cbranch_vccz .LBB12_15
; %bb.14:                               ;   in Loop: Header=BB12_12 Depth=2
	v_add_u32_e32 v6, v24, v22
	v_mad_u64_u32 v[6:7], s[28:29], v6, s33, v[0:1]
	s_cbranch_execnz .LBB12_10
	s_branch .LBB12_16
.LBB12_15:                              ;   in Loop: Header=BB12_12 Depth=2
                                        ; implicit-def: $vgpr6
.LBB12_16:                              ;   in Loop: Header=BB12_12 Depth=2
	v_add_u32_e32 v6, v16, v24
	s_branch .LBB12_10
.LBB12_17:                              ;   in Loop: Header=BB12_9 Depth=1
	s_or_b64 exec, exec, s[6:7]
	v_subrev_u32_e32 v6, s8, v8
	v_cmp_lt_i32_e32 vcc, v6, v1
	s_and_saveexec_b64 s[26:27], vcc
	s_cbranch_execz .LBB12_8
; %bb.18:                               ;   in Loop: Header=BB12_9 Depth=1
	v_ashrrev_i32_e32 v7, 31, v6
	v_lshlrev_b64 v[7:8], 2, v[6:7]
	v_mov_b32_e32 v22, s15
	v_add_co_u32_e64 v7, s[6:7], s14, v7
	v_addc_co_u32_e64 v8, s[6:7], v22, v8, s[6:7]
	global_load_dword v22, v[7:8], off glc
	s_waitcnt vmcnt(0)
	v_cmp_eq_u32_e64 s[6:7], 0, v22
	s_and_saveexec_b64 s[28:29], s[6:7]
	s_cbranch_execz .LBB12_21
; %bb.19:                               ;   in Loop: Header=BB12_9 Depth=1
	s_mov_b64 s[30:31], 0
.LBB12_20:                              ;   Parent Loop BB12_9 Depth=1
                                        ; =>  This Inner Loop Header: Depth=2
	global_load_dword v22, v[7:8], off glc
	s_waitcnt vmcnt(0)
	v_cmp_ne_u32_e64 s[6:7], 0, v22
	s_or_b64 s[30:31], s[6:7], s[30:31]
	s_andn2_b64 exec, exec, s[30:31]
	s_cbranch_execnz .LBB12_20
.LBB12_21:                              ;   in Loop: Header=BB12_9 Depth=1
	s_or_b64 exec, exec, s[28:29]
	s_waitcnt lgkmcnt(0)
	buffer_wbinvl1_vol
	s_and_saveexec_b64 s[28:29], s[4:5]
	s_cbranch_execz .LBB12_25
; %bb.22:                               ;   in Loop: Header=BB12_9 Depth=1
	v_mov_b32_e32 v7, 0
	s_and_saveexec_b64 s[30:31], s[0:1]
	s_cbranch_execz .LBB12_24
; %bb.23:                               ;   in Loop: Header=BB12_9 Depth=1
	v_mad_u64_u32 v[7:8], s[6:7], v6, s33, v[4:5]
	v_mov_b32_e32 v22, s13
	v_ashrrev_i32_e32 v8, 31, v7
	v_lshlrev_b64 v[7:8], 2, v[7:8]
	v_add_co_u32_e64 v7, s[6:7], s12, v7
	v_addc_co_u32_e64 v8, s[6:7], v22, v8, s[6:7]
	global_load_dword v7, v[7:8], off
.LBB12_24:                              ;   in Loop: Header=BB12_9 Depth=1
	s_or_b64 exec, exec, s[30:31]
	s_waitcnt vmcnt(0)
	ds_write_b32 v14, v7
.LBB12_25:                              ;   in Loop: Header=BB12_9 Depth=1
	s_or_b64 exec, exec, s[28:29]
	s_waitcnt lgkmcnt(0)
	s_and_saveexec_b64 s[6:7], s[0:1]
	s_cbranch_execz .LBB12_7
; %bb.26:                               ;   in Loop: Header=BB12_9 Depth=1
	ds_read2_b32 v[7:8], v15 offset1:32
	ds_read_b128 v[22:25], v11
	ds_read_b128 v[26:29], v11 offset:16
	ds_read2_b32 v[38:39], v15 offset0:64 offset1:96
	ds_read_b128 v[30:33], v11 offset:32
	ds_read_b128 v[34:37], v11 offset:48
	s_waitcnt lgkmcnt(4)
	v_fma_f32 v7, -v7, v22, v10
	ds_read2_b32 v[40:41], v15 offset0:128 offset1:160
	v_fma_f32 v7, -v8, v23, v7
	s_waitcnt lgkmcnt(3)
	v_fma_f32 v10, -v38, v24, v7
	ds_read2_b32 v[7:8], v15 offset0:192 offset1:224
	v_fma_f32 v10, -v39, v25, v10
	ds_read2_b32 v[22:23], v19 offset1:32
	s_waitcnt lgkmcnt(2)
	v_fma_f32 v10, -v40, v26, v10
	v_fma_f32 v10, -v41, v27, v10
	s_waitcnt lgkmcnt(1)
	v_fma_f32 v7, -v7, v28, v10
	ds_read2_b32 v[24:25], v19 offset0:64 offset1:96
	v_fma_f32 v7, -v8, v29, v7
	s_waitcnt lgkmcnt(1)
	v_fma_f32 v10, -v22, v30, v7
	ds_read2_b32 v[7:8], v19 offset0:128 offset1:160
	;; [unrolled: 4-line block ×3, first 2 shown]
	v_fma_f32 v10, -v25, v33, v10
	s_waitcnt lgkmcnt(1)
	v_fma_f32 v7, -v7, v34, v10
	v_fma_f32 v10, -v8, v35, v7
	ds_read2_b32 v[7:8], v20 offset1:32
	ds_read_b128 v[22:25], v11 offset:64
	s_waitcnt lgkmcnt(2)
	v_fma_f32 v10, -v26, v36, v10
	v_fma_f32 v10, -v27, v37, v10
	ds_read2_b32 v[30:31], v20 offset0:64 offset1:96
	ds_read_b128 v[26:29], v11 offset:80
	ds_read2_b32 v[32:33], v20 offset0:128 offset1:160
	s_waitcnt lgkmcnt(3)
	v_fma_f32 v7, -v7, v22, v10
	v_fma_f32 v7, -v8, v23, v7
	s_waitcnt lgkmcnt(2)
	v_fma_f32 v7, -v30, v24, v7
	v_fma_f32 v10, -v31, v25, v7
	ds_read2_b32 v[7:8], v20 offset0:192 offset1:224
	s_waitcnt lgkmcnt(1)
	v_fma_f32 v10, -v32, v26, v10
	ds_read2_b32 v[30:31], v21 offset1:32
	ds_read_b128 v[22:25], v11 offset:96
	v_fma_f32 v10, -v33, v27, v10
	s_waitcnt lgkmcnt(2)
	v_fma_f32 v7, -v7, v28, v10
	v_fma_f32 v10, -v8, v29, v7
	ds_read2_b32 v[7:8], v21 offset0:64 offset1:96
	ds_read_b128 v[26:29], v11 offset:112
	ds_read2_b32 v[32:33], v21 offset0:128 offset1:160
	s_waitcnt lgkmcnt(3)
	v_fma_f32 v10, -v30, v22, v10
	v_fma_f32 v10, -v31, v23, v10
	ds_read2_b32 v[22:23], v21 offset0:192 offset1:224
	s_waitcnt lgkmcnt(3)
	v_fma_f32 v7, -v7, v24, v10
	v_fma_f32 v7, -v8, v25, v7
	s_waitcnt lgkmcnt(1)
	v_fma_f32 v7, -v32, v26, v7
	v_fma_f32 v7, -v33, v27, v7
	;; [unrolled: 3-line block ×3, first 2 shown]
	s_branch .LBB12_7
.LBB12_27:
	s_or_b64 exec, exec, s[24:25]
.LBB12_28:
	s_or_b64 exec, exec, s[22:23]
	s_cmp_gt_i32 s33, 0
	v_cmp_eq_u32_e32 vcc, v6, v1
	s_cselect_b64 s[2:3], -1, 0
	s_mov_b32 s22, 0
	s_and_b64 s[4:5], s[2:3], vcc
	s_mov_b64 s[2:3], 0
	s_and_saveexec_b64 s[6:7], s[4:5]
	s_cbranch_execnz .LBB12_32
; %bb.29:
	s_or_b64 exec, exec, s[6:7]
	s_and_saveexec_b64 s[4:5], s[0:1]
	s_cbranch_execnz .LBB12_43
.LBB12_30:
	s_or_b64 exec, exec, s[4:5]
	v_cmp_eq_u32_e32 vcc, 0, v4
	s_and_b64 exec, exec, vcc
	s_cbranch_execnz .LBB12_44
.LBB12_31:
	s_endpgm
.LBB12_32:
	s_cmp_eq_u32 s9, 0
	v_mbcnt_lo_u32_b32 v0, -1, 0
	s_cselect_b64 s[2:3], -1, 0
	v_mbcnt_hi_u32_b32 v0, -1, v0
	v_cndmask_b32_e64 v6, 0, 1, s[2:3]
	v_and_b32_e32 v0, 64, v0
	v_lshl_add_u32 v5, v4, 2, v9
	s_mov_b64 s[10:11], 0
	v_cmp_ne_u32_e64 s[2:3], 1, v6
	s_branch .LBB12_35
.LBB12_33:                              ;   in Loop: Header=BB12_35 Depth=1
	s_or_b64 exec, exec, s[18:19]
.LBB12_34:                              ;   in Loop: Header=BB12_35 Depth=1
	s_or_b64 exec, exec, s[16:17]
	s_or_b64 s[10:11], s[4:5], s[10:11]
	s_add_i32 s22, s22, 1
	v_add_u32_e32 v5, 0x80, v5
	s_cmp_lg_u32 s33, s22
	v_add_u32_e32 v9, 0x84, v9
	s_cbranch_scc0 .LBB12_42
.LBB12_35:                              ; =>This Inner Loop Header: Depth=1
	s_and_b64 vcc, exec, s[2:3]
	v_mov_b32_e32 v6, 1.0
	s_cbranch_vccnz .LBB12_37
; %bb.36:                               ;   in Loop: Header=BB12_35 Depth=1
	ds_read_b32 v6, v9
.LBB12_37:                              ;   in Loop: Header=BB12_35 Depth=1
	v_and_or_b32 v7, s22, 63, v0
	v_lshlrev_b32_e32 v7, 2, v7
	ds_bpermute_b32 v7, v7, v10
	s_waitcnt lgkmcnt(0)
	v_cmp_eq_f32_e64 s[4:5], 0, v6
	s_and_saveexec_b64 s[16:17], s[0:1]
	s_cbranch_execz .LBB12_34
; %bb.38:                               ;   in Loop: Header=BB12_35 Depth=1
	v_div_scale_f32 v8, s[18:19], v6, v6, v7
	v_div_scale_f32 v11, vcc, v7, v6, v7
	v_rcp_f32_e32 v12, v8
	v_fma_f32 v13, -v8, v12, 1.0
	v_fmac_f32_e32 v12, v13, v12
	v_mul_f32_e32 v13, v11, v12
	v_fma_f32 v14, -v8, v13, v11
	v_fmac_f32_e32 v13, v14, v12
	v_fma_f32 v8, -v8, v13, v11
	v_div_fmas_f32 v8, v8, v12, v13
	v_cmp_ge_u32_e32 vcc, s22, v4
	v_div_fixup_f32 v6, v8, v6, v7
	v_cndmask_b32_e64 v6, v6, v7, s[4:5]
	s_and_saveexec_b64 s[18:19], vcc
	s_xor_b64 s[18:19], exec, s[18:19]
; %bb.39:                               ;   in Loop: Header=BB12_35 Depth=1
	v_cmp_eq_u32_e32 vcc, s22, v4
	v_cndmask_b32_e32 v10, v10, v6, vcc
                                        ; implicit-def: $vgpr6
; %bb.40:                               ;   in Loop: Header=BB12_35 Depth=1
	s_andn2_saveexec_b64 s[18:19], s[18:19]
	s_cbranch_execz .LBB12_33
; %bb.41:                               ;   in Loop: Header=BB12_35 Depth=1
	ds_read_b32 v7, v5
	s_waitcnt lgkmcnt(0)
	v_fma_f32 v10, -v6, v7, v10
	s_branch .LBB12_33
.LBB12_42:
	s_and_b64 s[2:3], s[10:11], exec
	s_or_b64 exec, exec, s[6:7]
	s_and_saveexec_b64 s[4:5], s[0:1]
	s_cbranch_execz .LBB12_30
.LBB12_43:
	v_mad_u64_u32 v[5:6], s[0:1], v1, s33, v[4:5]
	v_mov_b32_e32 v0, s13
	v_ashrrev_i32_e32 v6, 31, v5
	v_lshlrev_b64 v[5:6], 2, v[5:6]
	v_add_co_u32_e32 v5, vcc, s12, v5
	v_addc_co_u32_e32 v6, vcc, v0, v6, vcc
	global_store_dword v[5:6], v10, off
	s_or_b64 exec, exec, s[4:5]
	v_cmp_eq_u32_e32 vcc, 0, v4
	s_and_b64 exec, exec, vcc
	s_cbranch_execz .LBB12_31
.LBB12_44:
	v_mov_b32_e32 v0, s15
	v_add_co_u32_e32 v2, vcc, s14, v2
	v_addc_co_u32_e32 v3, vcc, v0, v3, vcc
	v_mov_b32_e32 v0, 1
	s_waitcnt vmcnt(0) lgkmcnt(0)
	global_store_dword v[2:3], v0, off
	s_and_b64 exec, exec, s[2:3]
	s_cbranch_execz .LBB12_31
; %bb.45:
	s_mov_b64 s[0:1], exec
	v_add_u32_e32 v0, s8, v1
	s_brev_b32 s2, -2
.LBB12_46:                              ; =>This Inner Loop Header: Depth=1
	s_ff1_i32_b64 s3, s[0:1]
	v_readlane_b32 s6, v0, s3
	s_lshl_b64 s[4:5], 1, s3
	s_min_i32 s2, s2, s6
	s_andn2_b64 s[0:1], s[0:1], s[4:5]
	s_cmp_lg_u64 s[0:1], 0
	s_cbranch_scc1 .LBB12_46
; %bb.47:
	v_mbcnt_lo_u32_b32 v0, exec_lo, 0
	v_mbcnt_hi_u32_b32 v0, exec_hi, v0
	v_cmp_eq_u32_e32 vcc, 0, v0
	s_and_saveexec_b64 s[0:1], vcc
	s_xor_b64 s[0:1], exec, s[0:1]
	s_cbranch_execz .LBB12_31
; %bb.48:
	v_mov_b32_e32 v0, 0
	v_mov_b32_e32 v1, s2
	global_atomic_smin v0, v1, s[20:21]
	s_endpgm
	.section	.rodata,"a",@progbits
	.p2align	6, 0x0
	.amdhsa_kernel _ZN9rocsparseL18bsrsv_lower_sharedILj128ELj64ELi32ELb0EfEEviNS_24const_host_device_scalarIT3_EEPKiS5_PKS2_iS7_PS2_PiS9_S9_21rocsparse_index_base_20rocsparse_diag_type_20rocsparse_direction_b
		.amdhsa_group_segment_fixed_size 8448
		.amdhsa_private_segment_fixed_size 0
		.amdhsa_kernarg_size 104
		.amdhsa_user_sgpr_count 6
		.amdhsa_user_sgpr_private_segment_buffer 1
		.amdhsa_user_sgpr_dispatch_ptr 0
		.amdhsa_user_sgpr_queue_ptr 0
		.amdhsa_user_sgpr_kernarg_segment_ptr 1
		.amdhsa_user_sgpr_dispatch_id 0
		.amdhsa_user_sgpr_flat_scratch_init 0
		.amdhsa_user_sgpr_private_segment_size 0
		.amdhsa_uses_dynamic_stack 0
		.amdhsa_system_sgpr_private_segment_wavefront_offset 0
		.amdhsa_system_sgpr_workgroup_id_x 1
		.amdhsa_system_sgpr_workgroup_id_y 0
		.amdhsa_system_sgpr_workgroup_id_z 0
		.amdhsa_system_sgpr_workgroup_info 0
		.amdhsa_system_vgpr_workitem_id 0
		.amdhsa_next_free_vgpr 49
		.amdhsa_next_free_sgpr 98
		.amdhsa_reserve_vcc 1
		.amdhsa_reserve_flat_scratch 0
		.amdhsa_float_round_mode_32 0
		.amdhsa_float_round_mode_16_64 0
		.amdhsa_float_denorm_mode_32 3
		.amdhsa_float_denorm_mode_16_64 3
		.amdhsa_dx10_clamp 1
		.amdhsa_ieee_mode 1
		.amdhsa_fp16_overflow 0
		.amdhsa_exception_fp_ieee_invalid_op 0
		.amdhsa_exception_fp_denorm_src 0
		.amdhsa_exception_fp_ieee_div_zero 0
		.amdhsa_exception_fp_ieee_overflow 0
		.amdhsa_exception_fp_ieee_underflow 0
		.amdhsa_exception_fp_ieee_inexact 0
		.amdhsa_exception_int_div_zero 0
	.end_amdhsa_kernel
	.section	.text._ZN9rocsparseL18bsrsv_lower_sharedILj128ELj64ELi32ELb0EfEEviNS_24const_host_device_scalarIT3_EEPKiS5_PKS2_iS7_PS2_PiS9_S9_21rocsparse_index_base_20rocsparse_diag_type_20rocsparse_direction_b,"axG",@progbits,_ZN9rocsparseL18bsrsv_lower_sharedILj128ELj64ELi32ELb0EfEEviNS_24const_host_device_scalarIT3_EEPKiS5_PKS2_iS7_PS2_PiS9_S9_21rocsparse_index_base_20rocsparse_diag_type_20rocsparse_direction_b,comdat
.Lfunc_end12:
	.size	_ZN9rocsparseL18bsrsv_lower_sharedILj128ELj64ELi32ELb0EfEEviNS_24const_host_device_scalarIT3_EEPKiS5_PKS2_iS7_PS2_PiS9_S9_21rocsparse_index_base_20rocsparse_diag_type_20rocsparse_direction_b, .Lfunc_end12-_ZN9rocsparseL18bsrsv_lower_sharedILj128ELj64ELi32ELb0EfEEviNS_24const_host_device_scalarIT3_EEPKiS5_PKS2_iS7_PS2_PiS9_S9_21rocsparse_index_base_20rocsparse_diag_type_20rocsparse_direction_b
                                        ; -- End function
	.set _ZN9rocsparseL18bsrsv_lower_sharedILj128ELj64ELi32ELb0EfEEviNS_24const_host_device_scalarIT3_EEPKiS5_PKS2_iS7_PS2_PiS9_S9_21rocsparse_index_base_20rocsparse_diag_type_20rocsparse_direction_b.num_vgpr, 42
	.set _ZN9rocsparseL18bsrsv_lower_sharedILj128ELj64ELi32ELb0EfEEviNS_24const_host_device_scalarIT3_EEPKiS5_PKS2_iS7_PS2_PiS9_S9_21rocsparse_index_base_20rocsparse_diag_type_20rocsparse_direction_b.num_agpr, 0
	.set _ZN9rocsparseL18bsrsv_lower_sharedILj128ELj64ELi32ELb0EfEEviNS_24const_host_device_scalarIT3_EEPKiS5_PKS2_iS7_PS2_PiS9_S9_21rocsparse_index_base_20rocsparse_diag_type_20rocsparse_direction_b.numbered_sgpr, 35
	.set _ZN9rocsparseL18bsrsv_lower_sharedILj128ELj64ELi32ELb0EfEEviNS_24const_host_device_scalarIT3_EEPKiS5_PKS2_iS7_PS2_PiS9_S9_21rocsparse_index_base_20rocsparse_diag_type_20rocsparse_direction_b.num_named_barrier, 0
	.set _ZN9rocsparseL18bsrsv_lower_sharedILj128ELj64ELi32ELb0EfEEviNS_24const_host_device_scalarIT3_EEPKiS5_PKS2_iS7_PS2_PiS9_S9_21rocsparse_index_base_20rocsparse_diag_type_20rocsparse_direction_b.private_seg_size, 0
	.set _ZN9rocsparseL18bsrsv_lower_sharedILj128ELj64ELi32ELb0EfEEviNS_24const_host_device_scalarIT3_EEPKiS5_PKS2_iS7_PS2_PiS9_S9_21rocsparse_index_base_20rocsparse_diag_type_20rocsparse_direction_b.uses_vcc, 1
	.set _ZN9rocsparseL18bsrsv_lower_sharedILj128ELj64ELi32ELb0EfEEviNS_24const_host_device_scalarIT3_EEPKiS5_PKS2_iS7_PS2_PiS9_S9_21rocsparse_index_base_20rocsparse_diag_type_20rocsparse_direction_b.uses_flat_scratch, 0
	.set _ZN9rocsparseL18bsrsv_lower_sharedILj128ELj64ELi32ELb0EfEEviNS_24const_host_device_scalarIT3_EEPKiS5_PKS2_iS7_PS2_PiS9_S9_21rocsparse_index_base_20rocsparse_diag_type_20rocsparse_direction_b.has_dyn_sized_stack, 0
	.set _ZN9rocsparseL18bsrsv_lower_sharedILj128ELj64ELi32ELb0EfEEviNS_24const_host_device_scalarIT3_EEPKiS5_PKS2_iS7_PS2_PiS9_S9_21rocsparse_index_base_20rocsparse_diag_type_20rocsparse_direction_b.has_recursion, 0
	.set _ZN9rocsparseL18bsrsv_lower_sharedILj128ELj64ELi32ELb0EfEEviNS_24const_host_device_scalarIT3_EEPKiS5_PKS2_iS7_PS2_PiS9_S9_21rocsparse_index_base_20rocsparse_diag_type_20rocsparse_direction_b.has_indirect_call, 0
	.section	.AMDGPU.csdata,"",@progbits
; Kernel info:
; codeLenInByte = 2000
; TotalNumSgprs: 39
; NumVgprs: 42
; ScratchSize: 0
; MemoryBound: 0
; FloatMode: 240
; IeeeMode: 1
; LDSByteSize: 8448 bytes/workgroup (compile time only)
; SGPRBlocks: 12
; VGPRBlocks: 12
; NumSGPRsForWavesPerEU: 102
; NumVGPRsForWavesPerEU: 49
; Occupancy: 4
; WaveLimiterHint : 1
; COMPUTE_PGM_RSRC2:SCRATCH_EN: 0
; COMPUTE_PGM_RSRC2:USER_SGPR: 6
; COMPUTE_PGM_RSRC2:TRAP_HANDLER: 0
; COMPUTE_PGM_RSRC2:TGID_X_EN: 1
; COMPUTE_PGM_RSRC2:TGID_Y_EN: 0
; COMPUTE_PGM_RSRC2:TGID_Z_EN: 0
; COMPUTE_PGM_RSRC2:TIDIG_COMP_CNT: 0
	.section	.text._ZN9rocsparseL18bsrsv_upper_sharedILj128ELj64ELi32ELb1EfEEviNS_24const_host_device_scalarIT3_EEPKiS5_PKS2_iS7_PS2_PiS9_S9_21rocsparse_index_base_20rocsparse_diag_type_20rocsparse_direction_b,"axG",@progbits,_ZN9rocsparseL18bsrsv_upper_sharedILj128ELj64ELi32ELb1EfEEviNS_24const_host_device_scalarIT3_EEPKiS5_PKS2_iS7_PS2_PiS9_S9_21rocsparse_index_base_20rocsparse_diag_type_20rocsparse_direction_b,comdat
	.globl	_ZN9rocsparseL18bsrsv_upper_sharedILj128ELj64ELi32ELb1EfEEviNS_24const_host_device_scalarIT3_EEPKiS5_PKS2_iS7_PS2_PiS9_S9_21rocsparse_index_base_20rocsparse_diag_type_20rocsparse_direction_b ; -- Begin function _ZN9rocsparseL18bsrsv_upper_sharedILj128ELj64ELi32ELb1EfEEviNS_24const_host_device_scalarIT3_EEPKiS5_PKS2_iS7_PS2_PiS9_S9_21rocsparse_index_base_20rocsparse_diag_type_20rocsparse_direction_b
	.p2align	8
	.type	_ZN9rocsparseL18bsrsv_upper_sharedILj128ELj64ELi32ELb1EfEEviNS_24const_host_device_scalarIT3_EEPKiS5_PKS2_iS7_PS2_PiS9_S9_21rocsparse_index_base_20rocsparse_diag_type_20rocsparse_direction_b,@function
_ZN9rocsparseL18bsrsv_upper_sharedILj128ELj64ELi32ELb1EfEEviNS_24const_host_device_scalarIT3_EEPKiS5_PKS2_iS7_PS2_PiS9_S9_21rocsparse_index_base_20rocsparse_diag_type_20rocsparse_direction_b: ; @_ZN9rocsparseL18bsrsv_upper_sharedILj128ELj64ELi32ELb1EfEEviNS_24const_host_device_scalarIT3_EEPKiS5_PKS2_iS7_PS2_PiS9_S9_21rocsparse_index_base_20rocsparse_diag_type_20rocsparse_direction_b
; %bb.0:
	s_load_dwordx4 s[8:11], s[4:5], 0x58
	s_load_dwordx2 s[2:3], s[4:5], 0x8
	s_waitcnt lgkmcnt(0)
	s_bitcmp1_b32 s11, 0
	s_cselect_b64 s[0:1], -1, 0
	s_and_b64 vcc, exec, s[0:1]
	s_cbranch_vccnz .LBB13_2
; %bb.1:
	s_load_dword s2, s[2:3], 0x0
.LBB13_2:
	s_nop 0
	s_load_dword s3, s[4:5], 0x0
	s_lshl_b32 s0, s6, 1
	v_lshrrev_b32_e32 v7, 6, v0
	s_and_b32 s0, s0, 0x3fffffe
	v_or_b32_e32 v1, s0, v7
	s_waitcnt lgkmcnt(0)
	v_cmp_gt_i32_e32 vcc, s3, v1
	s_and_saveexec_b64 s[0:1], vcc
	s_cbranch_execz .LBB13_33
; %bb.3:
	s_load_dwordx2 s[0:1], s[4:5], 0x48
	s_load_dwordx4 s[12:15], s[4:5], 0x38
	v_lshlrev_b32_e32 v1, 2, v1
	v_mov_b32_e32 v8, 0
	s_waitcnt lgkmcnt(0)
	global_load_dword v1, v1, s[0:1]
	s_load_dwordx2 s[0:1], s[4:5], 0x10
	s_load_dword s33, s[4:5], 0x28
	s_waitcnt lgkmcnt(0)
	v_mov_b32_e32 v5, s1
	s_waitcnt vmcnt(0)
	v_ashrrev_i32_e32 v2, 31, v1
	v_lshlrev_b64 v[2:3], 2, v[1:2]
	v_add_co_u32_e32 v4, vcc, s0, v2
	v_addc_co_u32_e32 v5, vcc, v5, v3, vcc
	global_load_dwordx2 v[5:6], v[4:5], off
	v_and_b32_e32 v4, 63, v0
	v_cmp_gt_i32_e64 s[0:1], s33, v4
	s_and_saveexec_b64 s[6:7], s[0:1]
	s_cbranch_execz .LBB13_5
; %bb.4:
	s_waitcnt vmcnt(0)
	v_mad_u64_u32 v[8:9], s[16:17], v1, s33, v[4:5]
	s_load_dwordx2 s[16:17], s[4:5], 0x30
	v_ashrrev_i32_e32 v9, 31, v8
	v_lshlrev_b64 v[8:9], 2, v[8:9]
	s_waitcnt lgkmcnt(0)
	v_mov_b32_e32 v10, s17
	v_add_co_u32_e32 v8, vcc, s16, v8
	v_addc_co_u32_e32 v9, vcc, v10, v9, vcc
	global_load_dword v8, v[8:9], off
.LBB13_5:
	s_or_b64 exec, exec, s[6:7]
	s_load_dwordx2 s[20:21], s[4:5], 0x50
	s_waitcnt vmcnt(0)
	v_subrev_u32_e32 v12, s8, v5
	v_xad_u32 v5, s8, -1, v6
	v_mul_f32_e32 v9, s2, v8
	v_lshlrev_b32_e32 v10, 12, v7
	v_cmp_ge_i32_e32 vcc, v5, v12
	v_mov_b32_e32 v6, s3
	v_lshlrev_b32_e32 v11, 2, v4
	s_and_saveexec_b64 s[22:23], vcc
	s_cbranch_execz .LBB13_30
; %bb.6:
	v_mov_b32_e32 v6, 0x2000
	v_and_b32_e32 v0, 31, v0
	s_load_dwordx4 s[16:19], s[4:5], 0x18
	v_lshl_or_b32 v13, v7, 7, v6
	v_mad_u64_u32 v[6:7], s[4:5], s33, v5, v[0:1]
	v_lshrrev_b32_e32 v14, 5, v4
	s_cmp_lg_u32 s10, 0
	v_mul_lo_u32 v17, s33, v6
	v_add_u32_e32 v16, v10, v11
	v_lshlrev_b32_e32 v6, 7, v14
	v_lshlrev_b32_e32 v7, 2, v0
	v_cmp_gt_i32_e64 s[2:3], s33, v0
	s_cselect_b64 s[10:11], -1, 0
	v_cmp_gt_u32_e64 s[4:5], 32, v4
	v_add_u32_e32 v15, v13, v11
	s_mul_i32 s34, s33, s33
	v_add3_u32 v18, v10, v6, v7
	s_mov_b64 s[24:25], 0
	s_waitcnt lgkmcnt(0)
	v_mov_b32_e32 v19, s17
	v_add_u32_e32 v20, 0x400, v16
	v_add_u32_e32 v21, 0x800, v16
	;; [unrolled: 1-line block ×3, first 2 shown]
	s_branch .LBB13_9
.LBB13_7:                               ;   in Loop: Header=BB13_9 Depth=1
	s_or_b64 exec, exec, s[6:7]
.LBB13_8:                               ;   in Loop: Header=BB13_9 Depth=1
	s_or_b64 exec, exec, s[26:27]
	v_cmp_le_i32_e64 s[6:7], v5, v12
	s_xor_b64 s[26:27], vcc, -1
	s_or_b64 s[6:7], s[26:27], s[6:7]
	v_add_u32_e32 v7, -1, v5
	s_and_b64 s[6:7], exec, s[6:7]
	v_subrev_u32_e32 v17, s34, v17
	s_or_b64 s[24:25], s[6:7], s[24:25]
	v_mov_b32_e32 v5, v7
	s_andn2_b64 exec, exec, s[24:25]
	s_cbranch_execz .LBB13_29
.LBB13_9:                               ; =>This Loop Header: Depth=1
                                        ;     Child Loop BB13_12 Depth 2
                                        ;     Child Loop BB13_21 Depth 2
                                        ;       Child Loop BB13_22 Depth 3
	v_ashrrev_i32_e32 v6, 31, v5
	v_lshlrev_b64 v[6:7], 2, v[5:6]
	v_mul_lo_u32 v23, v5, s33
	v_add_co_u32_e32 v6, vcc, s16, v6
	v_addc_co_u32_e32 v7, vcc, v19, v7, vcc
	global_load_dword v8, v[6:7], off
	s_mov_b64 s[6:7], 0
	v_mov_b32_e32 v24, v18
	v_mov_b32_e32 v25, v14
	s_branch .LBB13_12
.LBB13_10:                              ;   in Loop: Header=BB13_12 Depth=2
	v_ashrrev_i32_e32 v7, 31, v6
	v_lshlrev_b64 v[6:7], 2, v[6:7]
	v_mov_b32_e32 v26, s19
	v_add_co_u32_e32 v6, vcc, s18, v6
	v_addc_co_u32_e32 v7, vcc, v26, v7, vcc
	global_load_dword v6, v[6:7], off
.LBB13_11:                              ;   in Loop: Header=BB13_12 Depth=2
	s_or_b64 exec, exec, s[26:27]
	s_waitcnt vmcnt(0)
	ds_write_b32 v24, v6
	v_add_u32_e32 v6, 2, v25
	v_cmp_lt_u32_e32 vcc, 29, v25
	v_add_u32_e32 v24, 0x100, v24
	s_or_b64 s[6:7], vcc, s[6:7]
	v_mov_b32_e32 v25, v6
	s_andn2_b64 exec, exec, s[6:7]
	s_cbranch_execz .LBB13_17
.LBB13_12:                              ;   Parent Loop BB13_9 Depth=1
                                        ; =>  This Inner Loop Header: Depth=2
	v_cmp_gt_i32_e32 vcc, s33, v25
	s_and_b64 s[28:29], s[2:3], vcc
	v_mov_b32_e32 v6, 0
	s_and_saveexec_b64 s[26:27], s[28:29]
	s_cbranch_execz .LBB13_11
; %bb.13:                               ;   in Loop: Header=BB13_12 Depth=2
	s_and_b64 vcc, exec, s[10:11]
	s_cbranch_vccz .LBB13_15
; %bb.14:                               ;   in Loop: Header=BB13_12 Depth=2
	v_add_u32_e32 v6, v25, v23
	v_mad_u64_u32 v[6:7], s[28:29], v6, s33, v[0:1]
	s_cbranch_execnz .LBB13_10
	s_branch .LBB13_16
.LBB13_15:                              ;   in Loop: Header=BB13_12 Depth=2
                                        ; implicit-def: $vgpr6
.LBB13_16:                              ;   in Loop: Header=BB13_12 Depth=2
	v_add_u32_e32 v6, v17, v25
	s_branch .LBB13_10
.LBB13_17:                              ;   in Loop: Header=BB13_9 Depth=1
	s_or_b64 exec, exec, s[6:7]
	v_subrev_u32_e32 v6, s8, v8
	v_cmp_gt_i32_e32 vcc, v6, v1
	s_and_saveexec_b64 s[26:27], vcc
	s_cbranch_execz .LBB13_8
; %bb.18:                               ;   in Loop: Header=BB13_9 Depth=1
	v_ashrrev_i32_e32 v7, 31, v6
	v_lshlrev_b64 v[7:8], 2, v[6:7]
	v_mov_b32_e32 v23, s15
	v_add_co_u32_e64 v7, s[6:7], s14, v7
	v_addc_co_u32_e64 v8, s[6:7], v23, v8, s[6:7]
	global_load_dword v23, v[7:8], off glc
	s_waitcnt vmcnt(0)
	v_cmp_eq_u32_e64 s[6:7], 0, v23
	s_and_saveexec_b64 s[28:29], s[6:7]
	s_cbranch_execz .LBB13_23
; %bb.19:                               ;   in Loop: Header=BB13_9 Depth=1
	s_mov_b32 s17, 0
	s_mov_b64 s[30:31], 0
	s_branch .LBB13_21
.LBB13_20:                              ;   in Loop: Header=BB13_21 Depth=2
	global_load_dword v23, v[7:8], off glc
	s_cmpk_lt_u32 s17, 0xf43
	s_cselect_b64 s[6:7], -1, 0
	s_cmp_lg_u64 s[6:7], 0
	s_addc_u32 s17, s17, 0
	s_waitcnt vmcnt(0)
	v_cmp_ne_u32_e64 s[6:7], 0, v23
	s_or_b64 s[30:31], s[6:7], s[30:31]
	s_andn2_b64 exec, exec, s[30:31]
	s_cbranch_execz .LBB13_23
.LBB13_21:                              ;   Parent Loop BB13_9 Depth=1
                                        ; =>  This Loop Header: Depth=2
                                        ;       Child Loop BB13_22 Depth 3
	s_cmp_eq_u32 s17, 0
	s_mov_b32 s6, s17
	s_cbranch_scc1 .LBB13_20
.LBB13_22:                              ;   Parent Loop BB13_9 Depth=1
                                        ;     Parent Loop BB13_21 Depth=2
                                        ; =>    This Inner Loop Header: Depth=3
	s_add_i32 s6, s6, -1
	s_cmp_eq_u32 s6, 0
	s_sleep 1
	s_cbranch_scc0 .LBB13_22
	s_branch .LBB13_20
.LBB13_23:                              ;   in Loop: Header=BB13_9 Depth=1
	s_or_b64 exec, exec, s[28:29]
	s_waitcnt lgkmcnt(0)
	buffer_wbinvl1_vol
	s_and_saveexec_b64 s[28:29], s[4:5]
	s_cbranch_execz .LBB13_27
; %bb.24:                               ;   in Loop: Header=BB13_9 Depth=1
	v_mov_b32_e32 v7, 0
	s_and_saveexec_b64 s[30:31], s[0:1]
	s_cbranch_execz .LBB13_26
; %bb.25:                               ;   in Loop: Header=BB13_9 Depth=1
	v_mad_u64_u32 v[7:8], s[6:7], v6, s33, v[4:5]
	v_mov_b32_e32 v23, s13
	v_ashrrev_i32_e32 v8, 31, v7
	v_lshlrev_b64 v[7:8], 2, v[7:8]
	v_add_co_u32_e64 v7, s[6:7], s12, v7
	v_addc_co_u32_e64 v8, s[6:7], v23, v8, s[6:7]
	global_load_dword v7, v[7:8], off
.LBB13_26:                              ;   in Loop: Header=BB13_9 Depth=1
	s_or_b64 exec, exec, s[30:31]
	s_waitcnt vmcnt(0)
	ds_write_b32 v15, v7
.LBB13_27:                              ;   in Loop: Header=BB13_9 Depth=1
	s_or_b64 exec, exec, s[28:29]
	s_waitcnt lgkmcnt(0)
	s_and_saveexec_b64 s[6:7], s[0:1]
	s_cbranch_execz .LBB13_7
; %bb.28:                               ;   in Loop: Header=BB13_9 Depth=1
	ds_read2_b32 v[7:8], v16 offset1:32
	ds_read_b128 v[23:26], v13
	ds_read_b128 v[27:30], v13 offset:16
	ds_read2_b32 v[39:40], v16 offset0:64 offset1:96
	ds_read_b128 v[31:34], v13 offset:32
	ds_read_b128 v[35:38], v13 offset:48
	s_waitcnt lgkmcnt(4)
	v_fma_f32 v7, -v7, v23, v9
	ds_read2_b32 v[41:42], v16 offset0:128 offset1:160
	v_fma_f32 v7, -v8, v24, v7
	s_waitcnt lgkmcnt(3)
	v_fma_f32 v9, -v39, v25, v7
	ds_read2_b32 v[7:8], v16 offset0:192 offset1:224
	v_fma_f32 v9, -v40, v26, v9
	ds_read2_b32 v[23:24], v20 offset1:32
	s_waitcnt lgkmcnt(2)
	v_fma_f32 v9, -v41, v27, v9
	v_fma_f32 v9, -v42, v28, v9
	s_waitcnt lgkmcnt(1)
	v_fma_f32 v7, -v7, v29, v9
	ds_read2_b32 v[25:26], v20 offset0:64 offset1:96
	v_fma_f32 v7, -v8, v30, v7
	s_waitcnt lgkmcnt(1)
	v_fma_f32 v9, -v23, v31, v7
	ds_read2_b32 v[7:8], v20 offset0:128 offset1:160
	;; [unrolled: 4-line block ×3, first 2 shown]
	v_fma_f32 v9, -v26, v34, v9
	s_waitcnt lgkmcnt(1)
	v_fma_f32 v7, -v7, v35, v9
	v_fma_f32 v9, -v8, v36, v7
	ds_read2_b32 v[7:8], v21 offset1:32
	ds_read_b128 v[23:26], v13 offset:64
	s_waitcnt lgkmcnt(2)
	v_fma_f32 v9, -v27, v37, v9
	v_fma_f32 v9, -v28, v38, v9
	ds_read2_b32 v[31:32], v21 offset0:64 offset1:96
	ds_read_b128 v[27:30], v13 offset:80
	ds_read2_b32 v[33:34], v21 offset0:128 offset1:160
	s_waitcnt lgkmcnt(3)
	v_fma_f32 v7, -v7, v23, v9
	v_fma_f32 v7, -v8, v24, v7
	s_waitcnt lgkmcnt(2)
	v_fma_f32 v7, -v31, v25, v7
	v_fma_f32 v9, -v32, v26, v7
	ds_read2_b32 v[7:8], v21 offset0:192 offset1:224
	s_waitcnt lgkmcnt(1)
	v_fma_f32 v9, -v33, v27, v9
	ds_read2_b32 v[31:32], v22 offset1:32
	ds_read_b128 v[23:26], v13 offset:96
	v_fma_f32 v9, -v34, v28, v9
	s_waitcnt lgkmcnt(2)
	v_fma_f32 v7, -v7, v29, v9
	v_fma_f32 v9, -v8, v30, v7
	ds_read2_b32 v[7:8], v22 offset0:64 offset1:96
	ds_read_b128 v[27:30], v13 offset:112
	ds_read2_b32 v[33:34], v22 offset0:128 offset1:160
	s_waitcnt lgkmcnt(3)
	v_fma_f32 v9, -v31, v23, v9
	v_fma_f32 v9, -v32, v24, v9
	ds_read2_b32 v[23:24], v22 offset0:192 offset1:224
	s_waitcnt lgkmcnt(3)
	v_fma_f32 v7, -v7, v25, v9
	v_fma_f32 v7, -v8, v26, v7
	s_waitcnt lgkmcnt(1)
	v_fma_f32 v7, -v33, v27, v7
	v_fma_f32 v7, -v34, v28, v7
	;; [unrolled: 3-line block ×3, first 2 shown]
	s_branch .LBB13_7
.LBB13_29:
	s_or_b64 exec, exec, s[24:25]
.LBB13_30:
	s_or_b64 exec, exec, s[22:23]
	s_cmp_gt_i32 s33, 0
	v_cmp_eq_u32_e32 vcc, v6, v1
	s_cselect_b64 s[2:3], -1, 0
	s_and_b64 s[4:5], s[2:3], vcc
	s_mov_b64 s[2:3], 0
	s_and_saveexec_b64 s[6:7], s[4:5]
	s_cbranch_execnz .LBB13_34
; %bb.31:
	s_or_b64 exec, exec, s[6:7]
	s_and_saveexec_b64 s[4:5], s[0:1]
	s_cbranch_execnz .LBB13_45
.LBB13_32:
	s_or_b64 exec, exec, s[4:5]
	v_cmp_eq_u32_e32 vcc, 0, v4
	s_and_b64 exec, exec, vcc
	s_cbranch_execnz .LBB13_46
.LBB13_33:
	s_endpgm
.LBB13_34:
	s_cmp_eq_u32 s9, 0
	v_lshl_add_u32 v5, s33, 7, v10
	s_movk_i32 s4, 0xff80
	s_cselect_b64 s[2:3], -1, 0
	v_mbcnt_lo_u32_b32 v0, -1, 0
	v_add3_u32 v5, v5, v11, s4
	s_mul_i32 s4, s33, 0x84
	v_mbcnt_hi_u32_b32 v0, -1, v0
	v_add_u32_e32 v6, s4, v10
	v_cndmask_b32_e64 v7, 0, 1, s[2:3]
	v_and_b32_e32 v0, 64, v0
	s_add_i32 s9, s33, -1
	v_add_u32_e32 v6, 0xffffff7c, v6
	s_mov_b64 s[10:11], 0
	v_cmp_ne_u32_e64 s[2:3], 1, v7
	s_and_b64 vcc, exec, s[2:3]
	v_mov_b32_e32 v7, 1.0
	s_cbranch_vccnz .LBB13_36
.LBB13_35:
	ds_read_b32 v7, v6
.LBB13_36:                              ; =>This Inner Loop Header: Depth=1
	v_and_or_b32 v8, s9, 63, v0
	v_lshlrev_b32_e32 v8, 2, v8
	ds_bpermute_b32 v8, v8, v9
	s_waitcnt lgkmcnt(0)
	v_cmp_eq_f32_e64 s[4:5], 0, v7
	s_and_saveexec_b64 s[16:17], s[0:1]
	s_cbranch_execz .LBB13_42
; %bb.37:                               ;   in Loop: Header=BB13_36 Depth=1
	v_div_scale_f32 v10, s[18:19], v7, v7, v8
	v_div_scale_f32 v11, vcc, v8, v7, v8
	v_rcp_f32_e32 v12, v10
	v_fma_f32 v13, -v10, v12, 1.0
	v_fmac_f32_e32 v12, v13, v12
	v_mul_f32_e32 v13, v11, v12
	v_fma_f32 v14, -v10, v13, v11
	v_fmac_f32_e32 v13, v14, v12
	v_fma_f32 v10, -v10, v13, v11
	v_div_fmas_f32 v10, v10, v12, v13
	v_cmp_le_i32_e32 vcc, s9, v4
	v_div_fixup_f32 v7, v10, v7, v8
	v_cndmask_b32_e64 v7, v7, v8, s[4:5]
	s_and_saveexec_b64 s[18:19], vcc
	s_xor_b64 s[18:19], exec, s[18:19]
; %bb.38:                               ;   in Loop: Header=BB13_36 Depth=1
	v_cmp_eq_u32_e32 vcc, s9, v4
	v_cndmask_b32_e32 v9, v9, v7, vcc
                                        ; implicit-def: $vgpr7
; %bb.39:                               ;   in Loop: Header=BB13_36 Depth=1
	s_andn2_saveexec_b64 s[18:19], s[18:19]
	s_cbranch_execz .LBB13_41
; %bb.40:                               ;   in Loop: Header=BB13_36 Depth=1
	ds_read_b32 v8, v5
	s_waitcnt lgkmcnt(0)
	v_fma_f32 v9, -v7, v8, v9
.LBB13_41:                              ;   in Loop: Header=BB13_36 Depth=1
	s_or_b64 exec, exec, s[18:19]
.LBB13_42:                              ;   in Loop: Header=BB13_36 Depth=1
	s_or_b64 exec, exec, s[16:17]
	s_or_b64 s[10:11], s[4:5], s[10:11]
	s_add_i32 s4, s9, -1
	s_add_i32 s5, s9, 1
	v_add_u32_e32 v5, 0xffffff80, v5
	s_cmp_gt_u32 s5, 1
	v_add_u32_e32 v6, 0xffffff7c, v6
	s_cbranch_scc0 .LBB13_44
; %bb.43:                               ;   in Loop: Header=BB13_36 Depth=1
	s_mov_b32 s9, s4
	s_and_b64 vcc, exec, s[2:3]
	v_mov_b32_e32 v7, 1.0
	s_cbranch_vccnz .LBB13_36
	s_branch .LBB13_35
.LBB13_44:
	s_and_b64 s[2:3], s[10:11], exec
	s_or_b64 exec, exec, s[6:7]
	s_and_saveexec_b64 s[4:5], s[0:1]
	s_cbranch_execz .LBB13_32
.LBB13_45:
	v_mad_u64_u32 v[5:6], s[0:1], v1, s33, v[4:5]
	v_mov_b32_e32 v0, s13
	v_ashrrev_i32_e32 v6, 31, v5
	v_lshlrev_b64 v[5:6], 2, v[5:6]
	v_add_co_u32_e32 v5, vcc, s12, v5
	v_addc_co_u32_e32 v6, vcc, v0, v6, vcc
	global_store_dword v[5:6], v9, off
	s_or_b64 exec, exec, s[4:5]
	v_cmp_eq_u32_e32 vcc, 0, v4
	s_and_b64 exec, exec, vcc
	s_cbranch_execz .LBB13_33
.LBB13_46:
	v_mov_b32_e32 v0, s15
	v_add_co_u32_e32 v2, vcc, s14, v2
	v_addc_co_u32_e32 v3, vcc, v0, v3, vcc
	v_mov_b32_e32 v0, 1
	s_waitcnt vmcnt(0) lgkmcnt(0)
	global_store_dword v[2:3], v0, off
	s_and_b64 exec, exec, s[2:3]
	s_cbranch_execz .LBB13_33
; %bb.47:
	s_mov_b64 s[0:1], exec
	v_add_u32_e32 v0, s8, v1
	s_brev_b32 s2, -2
.LBB13_48:                              ; =>This Inner Loop Header: Depth=1
	s_ff1_i32_b64 s3, s[0:1]
	v_readlane_b32 s6, v0, s3
	s_lshl_b64 s[4:5], 1, s3
	s_min_i32 s2, s2, s6
	s_andn2_b64 s[0:1], s[0:1], s[4:5]
	s_cmp_lg_u64 s[0:1], 0
	s_cbranch_scc1 .LBB13_48
; %bb.49:
	v_mbcnt_lo_u32_b32 v0, exec_lo, 0
	v_mbcnt_hi_u32_b32 v0, exec_hi, v0
	v_cmp_eq_u32_e32 vcc, 0, v0
	s_and_saveexec_b64 s[0:1], vcc
	s_xor_b64 s[0:1], exec, s[0:1]
	s_cbranch_execz .LBB13_33
; %bb.50:
	v_mov_b32_e32 v0, 0
	v_mov_b32_e32 v1, s2
	global_atomic_smin v0, v1, s[20:21]
	s_endpgm
	.section	.rodata,"a",@progbits
	.p2align	6, 0x0
	.amdhsa_kernel _ZN9rocsparseL18bsrsv_upper_sharedILj128ELj64ELi32ELb1EfEEviNS_24const_host_device_scalarIT3_EEPKiS5_PKS2_iS7_PS2_PiS9_S9_21rocsparse_index_base_20rocsparse_diag_type_20rocsparse_direction_b
		.amdhsa_group_segment_fixed_size 8448
		.amdhsa_private_segment_fixed_size 0
		.amdhsa_kernarg_size 104
		.amdhsa_user_sgpr_count 6
		.amdhsa_user_sgpr_private_segment_buffer 1
		.amdhsa_user_sgpr_dispatch_ptr 0
		.amdhsa_user_sgpr_queue_ptr 0
		.amdhsa_user_sgpr_kernarg_segment_ptr 1
		.amdhsa_user_sgpr_dispatch_id 0
		.amdhsa_user_sgpr_flat_scratch_init 0
		.amdhsa_user_sgpr_private_segment_size 0
		.amdhsa_uses_dynamic_stack 0
		.amdhsa_system_sgpr_private_segment_wavefront_offset 0
		.amdhsa_system_sgpr_workgroup_id_x 1
		.amdhsa_system_sgpr_workgroup_id_y 0
		.amdhsa_system_sgpr_workgroup_id_z 0
		.amdhsa_system_sgpr_workgroup_info 0
		.amdhsa_system_vgpr_workitem_id 0
		.amdhsa_next_free_vgpr 49
		.amdhsa_next_free_sgpr 98
		.amdhsa_reserve_vcc 1
		.amdhsa_reserve_flat_scratch 0
		.amdhsa_float_round_mode_32 0
		.amdhsa_float_round_mode_16_64 0
		.amdhsa_float_denorm_mode_32 3
		.amdhsa_float_denorm_mode_16_64 3
		.amdhsa_dx10_clamp 1
		.amdhsa_ieee_mode 1
		.amdhsa_fp16_overflow 0
		.amdhsa_exception_fp_ieee_invalid_op 0
		.amdhsa_exception_fp_denorm_src 0
		.amdhsa_exception_fp_ieee_div_zero 0
		.amdhsa_exception_fp_ieee_overflow 0
		.amdhsa_exception_fp_ieee_underflow 0
		.amdhsa_exception_fp_ieee_inexact 0
		.amdhsa_exception_int_div_zero 0
	.end_amdhsa_kernel
	.section	.text._ZN9rocsparseL18bsrsv_upper_sharedILj128ELj64ELi32ELb1EfEEviNS_24const_host_device_scalarIT3_EEPKiS5_PKS2_iS7_PS2_PiS9_S9_21rocsparse_index_base_20rocsparse_diag_type_20rocsparse_direction_b,"axG",@progbits,_ZN9rocsparseL18bsrsv_upper_sharedILj128ELj64ELi32ELb1EfEEviNS_24const_host_device_scalarIT3_EEPKiS5_PKS2_iS7_PS2_PiS9_S9_21rocsparse_index_base_20rocsparse_diag_type_20rocsparse_direction_b,comdat
.Lfunc_end13:
	.size	_ZN9rocsparseL18bsrsv_upper_sharedILj128ELj64ELi32ELb1EfEEviNS_24const_host_device_scalarIT3_EEPKiS5_PKS2_iS7_PS2_PiS9_S9_21rocsparse_index_base_20rocsparse_diag_type_20rocsparse_direction_b, .Lfunc_end13-_ZN9rocsparseL18bsrsv_upper_sharedILj128ELj64ELi32ELb1EfEEviNS_24const_host_device_scalarIT3_EEPKiS5_PKS2_iS7_PS2_PiS9_S9_21rocsparse_index_base_20rocsparse_diag_type_20rocsparse_direction_b
                                        ; -- End function
	.set _ZN9rocsparseL18bsrsv_upper_sharedILj128ELj64ELi32ELb1EfEEviNS_24const_host_device_scalarIT3_EEPKiS5_PKS2_iS7_PS2_PiS9_S9_21rocsparse_index_base_20rocsparse_diag_type_20rocsparse_direction_b.num_vgpr, 43
	.set _ZN9rocsparseL18bsrsv_upper_sharedILj128ELj64ELi32ELb1EfEEviNS_24const_host_device_scalarIT3_EEPKiS5_PKS2_iS7_PS2_PiS9_S9_21rocsparse_index_base_20rocsparse_diag_type_20rocsparse_direction_b.num_agpr, 0
	.set _ZN9rocsparseL18bsrsv_upper_sharedILj128ELj64ELi32ELb1EfEEviNS_24const_host_device_scalarIT3_EEPKiS5_PKS2_iS7_PS2_PiS9_S9_21rocsparse_index_base_20rocsparse_diag_type_20rocsparse_direction_b.numbered_sgpr, 35
	.set _ZN9rocsparseL18bsrsv_upper_sharedILj128ELj64ELi32ELb1EfEEviNS_24const_host_device_scalarIT3_EEPKiS5_PKS2_iS7_PS2_PiS9_S9_21rocsparse_index_base_20rocsparse_diag_type_20rocsparse_direction_b.num_named_barrier, 0
	.set _ZN9rocsparseL18bsrsv_upper_sharedILj128ELj64ELi32ELb1EfEEviNS_24const_host_device_scalarIT3_EEPKiS5_PKS2_iS7_PS2_PiS9_S9_21rocsparse_index_base_20rocsparse_diag_type_20rocsparse_direction_b.private_seg_size, 0
	.set _ZN9rocsparseL18bsrsv_upper_sharedILj128ELj64ELi32ELb1EfEEviNS_24const_host_device_scalarIT3_EEPKiS5_PKS2_iS7_PS2_PiS9_S9_21rocsparse_index_base_20rocsparse_diag_type_20rocsparse_direction_b.uses_vcc, 1
	.set _ZN9rocsparseL18bsrsv_upper_sharedILj128ELj64ELi32ELb1EfEEviNS_24const_host_device_scalarIT3_EEPKiS5_PKS2_iS7_PS2_PiS9_S9_21rocsparse_index_base_20rocsparse_diag_type_20rocsparse_direction_b.uses_flat_scratch, 0
	.set _ZN9rocsparseL18bsrsv_upper_sharedILj128ELj64ELi32ELb1EfEEviNS_24const_host_device_scalarIT3_EEPKiS5_PKS2_iS7_PS2_PiS9_S9_21rocsparse_index_base_20rocsparse_diag_type_20rocsparse_direction_b.has_dyn_sized_stack, 0
	.set _ZN9rocsparseL18bsrsv_upper_sharedILj128ELj64ELi32ELb1EfEEviNS_24const_host_device_scalarIT3_EEPKiS5_PKS2_iS7_PS2_PiS9_S9_21rocsparse_index_base_20rocsparse_diag_type_20rocsparse_direction_b.has_recursion, 0
	.set _ZN9rocsparseL18bsrsv_upper_sharedILj128ELj64ELi32ELb1EfEEviNS_24const_host_device_scalarIT3_EEPKiS5_PKS2_iS7_PS2_PiS9_S9_21rocsparse_index_base_20rocsparse_diag_type_20rocsparse_direction_b.has_indirect_call, 0
	.section	.AMDGPU.csdata,"",@progbits
; Kernel info:
; codeLenInByte = 2116
; TotalNumSgprs: 39
; NumVgprs: 43
; ScratchSize: 0
; MemoryBound: 0
; FloatMode: 240
; IeeeMode: 1
; LDSByteSize: 8448 bytes/workgroup (compile time only)
; SGPRBlocks: 12
; VGPRBlocks: 12
; NumSGPRsForWavesPerEU: 102
; NumVGPRsForWavesPerEU: 49
; Occupancy: 4
; WaveLimiterHint : 1
; COMPUTE_PGM_RSRC2:SCRATCH_EN: 0
; COMPUTE_PGM_RSRC2:USER_SGPR: 6
; COMPUTE_PGM_RSRC2:TRAP_HANDLER: 0
; COMPUTE_PGM_RSRC2:TGID_X_EN: 1
; COMPUTE_PGM_RSRC2:TGID_Y_EN: 0
; COMPUTE_PGM_RSRC2:TGID_Z_EN: 0
; COMPUTE_PGM_RSRC2:TIDIG_COMP_CNT: 0
	.section	.text._ZN9rocsparseL18bsrsv_upper_sharedILj128ELj64ELi32ELb0EfEEviNS_24const_host_device_scalarIT3_EEPKiS5_PKS2_iS7_PS2_PiS9_S9_21rocsparse_index_base_20rocsparse_diag_type_20rocsparse_direction_b,"axG",@progbits,_ZN9rocsparseL18bsrsv_upper_sharedILj128ELj64ELi32ELb0EfEEviNS_24const_host_device_scalarIT3_EEPKiS5_PKS2_iS7_PS2_PiS9_S9_21rocsparse_index_base_20rocsparse_diag_type_20rocsparse_direction_b,comdat
	.globl	_ZN9rocsparseL18bsrsv_upper_sharedILj128ELj64ELi32ELb0EfEEviNS_24const_host_device_scalarIT3_EEPKiS5_PKS2_iS7_PS2_PiS9_S9_21rocsparse_index_base_20rocsparse_diag_type_20rocsparse_direction_b ; -- Begin function _ZN9rocsparseL18bsrsv_upper_sharedILj128ELj64ELi32ELb0EfEEviNS_24const_host_device_scalarIT3_EEPKiS5_PKS2_iS7_PS2_PiS9_S9_21rocsparse_index_base_20rocsparse_diag_type_20rocsparse_direction_b
	.p2align	8
	.type	_ZN9rocsparseL18bsrsv_upper_sharedILj128ELj64ELi32ELb0EfEEviNS_24const_host_device_scalarIT3_EEPKiS5_PKS2_iS7_PS2_PiS9_S9_21rocsparse_index_base_20rocsparse_diag_type_20rocsparse_direction_b,@function
_ZN9rocsparseL18bsrsv_upper_sharedILj128ELj64ELi32ELb0EfEEviNS_24const_host_device_scalarIT3_EEPKiS5_PKS2_iS7_PS2_PiS9_S9_21rocsparse_index_base_20rocsparse_diag_type_20rocsparse_direction_b: ; @_ZN9rocsparseL18bsrsv_upper_sharedILj128ELj64ELi32ELb0EfEEviNS_24const_host_device_scalarIT3_EEPKiS5_PKS2_iS7_PS2_PiS9_S9_21rocsparse_index_base_20rocsparse_diag_type_20rocsparse_direction_b
; %bb.0:
	s_load_dwordx4 s[8:11], s[4:5], 0x58
	s_load_dwordx2 s[2:3], s[4:5], 0x8
	s_waitcnt lgkmcnt(0)
	s_bitcmp1_b32 s11, 0
	s_cselect_b64 s[0:1], -1, 0
	s_and_b64 vcc, exec, s[0:1]
	s_cbranch_vccnz .LBB14_2
; %bb.1:
	s_load_dword s2, s[2:3], 0x0
.LBB14_2:
	s_nop 0
	s_load_dword s3, s[4:5], 0x0
	s_lshl_b32 s0, s6, 1
	v_lshrrev_b32_e32 v7, 6, v0
	s_and_b32 s0, s0, 0x3fffffe
	v_or_b32_e32 v1, s0, v7
	s_waitcnt lgkmcnt(0)
	v_cmp_gt_i32_e32 vcc, s3, v1
	s_and_saveexec_b64 s[0:1], vcc
	s_cbranch_execz .LBB14_31
; %bb.3:
	s_load_dwordx2 s[0:1], s[4:5], 0x48
	s_load_dwordx4 s[12:15], s[4:5], 0x38
	v_lshlrev_b32_e32 v1, 2, v1
	v_mov_b32_e32 v8, 0
	s_waitcnt lgkmcnt(0)
	global_load_dword v1, v1, s[0:1]
	s_load_dwordx2 s[0:1], s[4:5], 0x10
	s_load_dword s33, s[4:5], 0x28
	s_waitcnt lgkmcnt(0)
	v_mov_b32_e32 v5, s1
	s_waitcnt vmcnt(0)
	v_ashrrev_i32_e32 v2, 31, v1
	v_lshlrev_b64 v[2:3], 2, v[1:2]
	v_add_co_u32_e32 v4, vcc, s0, v2
	v_addc_co_u32_e32 v5, vcc, v5, v3, vcc
	global_load_dwordx2 v[5:6], v[4:5], off
	v_and_b32_e32 v4, 63, v0
	v_cmp_gt_i32_e64 s[0:1], s33, v4
	s_and_saveexec_b64 s[6:7], s[0:1]
	s_cbranch_execz .LBB14_5
; %bb.4:
	s_waitcnt vmcnt(0)
	v_mad_u64_u32 v[8:9], s[16:17], v1, s33, v[4:5]
	s_load_dwordx2 s[16:17], s[4:5], 0x30
	v_ashrrev_i32_e32 v9, 31, v8
	v_lshlrev_b64 v[8:9], 2, v[8:9]
	s_waitcnt lgkmcnt(0)
	v_mov_b32_e32 v10, s17
	v_add_co_u32_e32 v8, vcc, s16, v8
	v_addc_co_u32_e32 v9, vcc, v10, v9, vcc
	global_load_dword v8, v[8:9], off
.LBB14_5:
	s_or_b64 exec, exec, s[6:7]
	s_load_dwordx2 s[20:21], s[4:5], 0x50
	s_waitcnt vmcnt(0)
	v_subrev_u32_e32 v12, s8, v5
	v_xad_u32 v5, s8, -1, v6
	v_mul_f32_e32 v9, s2, v8
	v_lshlrev_b32_e32 v10, 12, v7
	v_cmp_ge_i32_e32 vcc, v5, v12
	v_mov_b32_e32 v6, s3
	v_lshlrev_b32_e32 v11, 2, v4
	s_and_saveexec_b64 s[22:23], vcc
	s_cbranch_execz .LBB14_28
; %bb.6:
	v_mov_b32_e32 v6, 0x2000
	v_and_b32_e32 v0, 31, v0
	s_load_dwordx4 s[16:19], s[4:5], 0x18
	v_lshl_or_b32 v13, v7, 7, v6
	v_mad_u64_u32 v[6:7], s[4:5], s33, v5, v[0:1]
	v_lshrrev_b32_e32 v14, 5, v4
	s_cmp_lg_u32 s10, 0
	v_mul_lo_u32 v17, s33, v6
	v_add_u32_e32 v16, v10, v11
	v_lshlrev_b32_e32 v6, 7, v14
	v_lshlrev_b32_e32 v7, 2, v0
	v_cmp_gt_i32_e64 s[2:3], s33, v0
	s_cselect_b64 s[10:11], -1, 0
	v_cmp_gt_u32_e64 s[4:5], 32, v4
	v_add_u32_e32 v15, v13, v11
	s_mul_i32 s34, s33, s33
	v_add3_u32 v18, v10, v6, v7
	s_mov_b64 s[24:25], 0
	s_waitcnt lgkmcnt(0)
	v_mov_b32_e32 v19, s17
	v_add_u32_e32 v20, 0x400, v16
	v_add_u32_e32 v21, 0x800, v16
	;; [unrolled: 1-line block ×3, first 2 shown]
	s_branch .LBB14_9
.LBB14_7:                               ;   in Loop: Header=BB14_9 Depth=1
	s_or_b64 exec, exec, s[6:7]
.LBB14_8:                               ;   in Loop: Header=BB14_9 Depth=1
	s_or_b64 exec, exec, s[26:27]
	v_cmp_le_i32_e64 s[6:7], v5, v12
	s_xor_b64 s[26:27], vcc, -1
	s_or_b64 s[6:7], s[26:27], s[6:7]
	v_add_u32_e32 v7, -1, v5
	s_and_b64 s[6:7], exec, s[6:7]
	v_subrev_u32_e32 v17, s34, v17
	s_or_b64 s[24:25], s[6:7], s[24:25]
	v_mov_b32_e32 v5, v7
	s_andn2_b64 exec, exec, s[24:25]
	s_cbranch_execz .LBB14_27
.LBB14_9:                               ; =>This Loop Header: Depth=1
                                        ;     Child Loop BB14_12 Depth 2
                                        ;     Child Loop BB14_20 Depth 2
	v_ashrrev_i32_e32 v6, 31, v5
	v_lshlrev_b64 v[6:7], 2, v[5:6]
	v_mul_lo_u32 v23, v5, s33
	v_add_co_u32_e32 v6, vcc, s16, v6
	v_addc_co_u32_e32 v7, vcc, v19, v7, vcc
	global_load_dword v8, v[6:7], off
	s_mov_b64 s[6:7], 0
	v_mov_b32_e32 v24, v18
	v_mov_b32_e32 v25, v14
	s_branch .LBB14_12
.LBB14_10:                              ;   in Loop: Header=BB14_12 Depth=2
	v_ashrrev_i32_e32 v7, 31, v6
	v_lshlrev_b64 v[6:7], 2, v[6:7]
	v_mov_b32_e32 v26, s19
	v_add_co_u32_e32 v6, vcc, s18, v6
	v_addc_co_u32_e32 v7, vcc, v26, v7, vcc
	global_load_dword v6, v[6:7], off
.LBB14_11:                              ;   in Loop: Header=BB14_12 Depth=2
	s_or_b64 exec, exec, s[26:27]
	s_waitcnt vmcnt(0)
	ds_write_b32 v24, v6
	v_add_u32_e32 v6, 2, v25
	v_cmp_lt_u32_e32 vcc, 29, v25
	v_add_u32_e32 v24, 0x100, v24
	s_or_b64 s[6:7], vcc, s[6:7]
	v_mov_b32_e32 v25, v6
	s_andn2_b64 exec, exec, s[6:7]
	s_cbranch_execz .LBB14_17
.LBB14_12:                              ;   Parent Loop BB14_9 Depth=1
                                        ; =>  This Inner Loop Header: Depth=2
	v_cmp_gt_i32_e32 vcc, s33, v25
	s_and_b64 s[28:29], s[2:3], vcc
	v_mov_b32_e32 v6, 0
	s_and_saveexec_b64 s[26:27], s[28:29]
	s_cbranch_execz .LBB14_11
; %bb.13:                               ;   in Loop: Header=BB14_12 Depth=2
	s_and_b64 vcc, exec, s[10:11]
	s_cbranch_vccz .LBB14_15
; %bb.14:                               ;   in Loop: Header=BB14_12 Depth=2
	v_add_u32_e32 v6, v25, v23
	v_mad_u64_u32 v[6:7], s[28:29], v6, s33, v[0:1]
	s_cbranch_execnz .LBB14_10
	s_branch .LBB14_16
.LBB14_15:                              ;   in Loop: Header=BB14_12 Depth=2
                                        ; implicit-def: $vgpr6
.LBB14_16:                              ;   in Loop: Header=BB14_12 Depth=2
	v_add_u32_e32 v6, v17, v25
	s_branch .LBB14_10
.LBB14_17:                              ;   in Loop: Header=BB14_9 Depth=1
	s_or_b64 exec, exec, s[6:7]
	v_subrev_u32_e32 v6, s8, v8
	v_cmp_gt_i32_e32 vcc, v6, v1
	s_and_saveexec_b64 s[26:27], vcc
	s_cbranch_execz .LBB14_8
; %bb.18:                               ;   in Loop: Header=BB14_9 Depth=1
	v_ashrrev_i32_e32 v7, 31, v6
	v_lshlrev_b64 v[7:8], 2, v[6:7]
	v_mov_b32_e32 v23, s15
	v_add_co_u32_e64 v7, s[6:7], s14, v7
	v_addc_co_u32_e64 v8, s[6:7], v23, v8, s[6:7]
	global_load_dword v23, v[7:8], off glc
	s_waitcnt vmcnt(0)
	v_cmp_eq_u32_e64 s[6:7], 0, v23
	s_and_saveexec_b64 s[28:29], s[6:7]
	s_cbranch_execz .LBB14_21
; %bb.19:                               ;   in Loop: Header=BB14_9 Depth=1
	s_mov_b64 s[30:31], 0
.LBB14_20:                              ;   Parent Loop BB14_9 Depth=1
                                        ; =>  This Inner Loop Header: Depth=2
	global_load_dword v23, v[7:8], off glc
	s_waitcnt vmcnt(0)
	v_cmp_ne_u32_e64 s[6:7], 0, v23
	s_or_b64 s[30:31], s[6:7], s[30:31]
	s_andn2_b64 exec, exec, s[30:31]
	s_cbranch_execnz .LBB14_20
.LBB14_21:                              ;   in Loop: Header=BB14_9 Depth=1
	s_or_b64 exec, exec, s[28:29]
	s_waitcnt lgkmcnt(0)
	buffer_wbinvl1_vol
	s_and_saveexec_b64 s[28:29], s[4:5]
	s_cbranch_execz .LBB14_25
; %bb.22:                               ;   in Loop: Header=BB14_9 Depth=1
	v_mov_b32_e32 v7, 0
	s_and_saveexec_b64 s[30:31], s[0:1]
	s_cbranch_execz .LBB14_24
; %bb.23:                               ;   in Loop: Header=BB14_9 Depth=1
	v_mad_u64_u32 v[7:8], s[6:7], v6, s33, v[4:5]
	v_mov_b32_e32 v23, s13
	v_ashrrev_i32_e32 v8, 31, v7
	v_lshlrev_b64 v[7:8], 2, v[7:8]
	v_add_co_u32_e64 v7, s[6:7], s12, v7
	v_addc_co_u32_e64 v8, s[6:7], v23, v8, s[6:7]
	global_load_dword v7, v[7:8], off
.LBB14_24:                              ;   in Loop: Header=BB14_9 Depth=1
	s_or_b64 exec, exec, s[30:31]
	s_waitcnt vmcnt(0)
	ds_write_b32 v15, v7
.LBB14_25:                              ;   in Loop: Header=BB14_9 Depth=1
	s_or_b64 exec, exec, s[28:29]
	s_waitcnt lgkmcnt(0)
	s_and_saveexec_b64 s[6:7], s[0:1]
	s_cbranch_execz .LBB14_7
; %bb.26:                               ;   in Loop: Header=BB14_9 Depth=1
	ds_read2_b32 v[7:8], v16 offset1:32
	ds_read_b128 v[23:26], v13
	ds_read_b128 v[27:30], v13 offset:16
	ds_read2_b32 v[39:40], v16 offset0:64 offset1:96
	ds_read_b128 v[31:34], v13 offset:32
	ds_read_b128 v[35:38], v13 offset:48
	s_waitcnt lgkmcnt(4)
	v_fma_f32 v7, -v7, v23, v9
	ds_read2_b32 v[41:42], v16 offset0:128 offset1:160
	v_fma_f32 v7, -v8, v24, v7
	s_waitcnt lgkmcnt(3)
	v_fma_f32 v9, -v39, v25, v7
	ds_read2_b32 v[7:8], v16 offset0:192 offset1:224
	v_fma_f32 v9, -v40, v26, v9
	ds_read2_b32 v[23:24], v20 offset1:32
	s_waitcnt lgkmcnt(2)
	v_fma_f32 v9, -v41, v27, v9
	v_fma_f32 v9, -v42, v28, v9
	s_waitcnt lgkmcnt(1)
	v_fma_f32 v7, -v7, v29, v9
	ds_read2_b32 v[25:26], v20 offset0:64 offset1:96
	v_fma_f32 v7, -v8, v30, v7
	s_waitcnt lgkmcnt(1)
	v_fma_f32 v9, -v23, v31, v7
	ds_read2_b32 v[7:8], v20 offset0:128 offset1:160
	;; [unrolled: 4-line block ×3, first 2 shown]
	v_fma_f32 v9, -v26, v34, v9
	s_waitcnt lgkmcnt(1)
	v_fma_f32 v7, -v7, v35, v9
	v_fma_f32 v9, -v8, v36, v7
	ds_read2_b32 v[7:8], v21 offset1:32
	ds_read_b128 v[23:26], v13 offset:64
	s_waitcnt lgkmcnt(2)
	v_fma_f32 v9, -v27, v37, v9
	v_fma_f32 v9, -v28, v38, v9
	ds_read2_b32 v[31:32], v21 offset0:64 offset1:96
	ds_read_b128 v[27:30], v13 offset:80
	ds_read2_b32 v[33:34], v21 offset0:128 offset1:160
	s_waitcnt lgkmcnt(3)
	v_fma_f32 v7, -v7, v23, v9
	v_fma_f32 v7, -v8, v24, v7
	s_waitcnt lgkmcnt(2)
	v_fma_f32 v7, -v31, v25, v7
	v_fma_f32 v9, -v32, v26, v7
	ds_read2_b32 v[7:8], v21 offset0:192 offset1:224
	s_waitcnt lgkmcnt(1)
	v_fma_f32 v9, -v33, v27, v9
	ds_read2_b32 v[31:32], v22 offset1:32
	ds_read_b128 v[23:26], v13 offset:96
	v_fma_f32 v9, -v34, v28, v9
	s_waitcnt lgkmcnt(2)
	v_fma_f32 v7, -v7, v29, v9
	v_fma_f32 v9, -v8, v30, v7
	ds_read2_b32 v[7:8], v22 offset0:64 offset1:96
	ds_read_b128 v[27:30], v13 offset:112
	ds_read2_b32 v[33:34], v22 offset0:128 offset1:160
	s_waitcnt lgkmcnt(3)
	v_fma_f32 v9, -v31, v23, v9
	v_fma_f32 v9, -v32, v24, v9
	ds_read2_b32 v[23:24], v22 offset0:192 offset1:224
	s_waitcnt lgkmcnt(3)
	v_fma_f32 v7, -v7, v25, v9
	v_fma_f32 v7, -v8, v26, v7
	s_waitcnt lgkmcnt(1)
	v_fma_f32 v7, -v33, v27, v7
	v_fma_f32 v7, -v34, v28, v7
	;; [unrolled: 3-line block ×3, first 2 shown]
	s_branch .LBB14_7
.LBB14_27:
	s_or_b64 exec, exec, s[24:25]
.LBB14_28:
	s_or_b64 exec, exec, s[22:23]
	s_cmp_gt_i32 s33, 0
	v_cmp_eq_u32_e32 vcc, v6, v1
	s_cselect_b64 s[2:3], -1, 0
	s_and_b64 s[4:5], s[2:3], vcc
	s_mov_b64 s[2:3], 0
	s_and_saveexec_b64 s[6:7], s[4:5]
	s_cbranch_execnz .LBB14_32
; %bb.29:
	s_or_b64 exec, exec, s[6:7]
	s_and_saveexec_b64 s[4:5], s[0:1]
	s_cbranch_execnz .LBB14_43
.LBB14_30:
	s_or_b64 exec, exec, s[4:5]
	v_cmp_eq_u32_e32 vcc, 0, v4
	s_and_b64 exec, exec, vcc
	s_cbranch_execnz .LBB14_44
.LBB14_31:
	s_endpgm
.LBB14_32:
	s_cmp_eq_u32 s9, 0
	v_lshl_add_u32 v5, s33, 7, v10
	s_movk_i32 s4, 0xff80
	s_cselect_b64 s[2:3], -1, 0
	v_mbcnt_lo_u32_b32 v0, -1, 0
	v_add3_u32 v5, v5, v11, s4
	s_mul_i32 s4, s33, 0x84
	v_mbcnt_hi_u32_b32 v0, -1, v0
	v_add_u32_e32 v6, s4, v10
	v_cndmask_b32_e64 v7, 0, 1, s[2:3]
	v_and_b32_e32 v0, 64, v0
	s_add_i32 s9, s33, -1
	v_add_u32_e32 v6, 0xffffff7c, v6
	s_mov_b64 s[10:11], 0
	v_cmp_ne_u32_e64 s[2:3], 1, v7
	s_and_b64 vcc, exec, s[2:3]
	v_mov_b32_e32 v7, 1.0
	s_cbranch_vccnz .LBB14_34
.LBB14_33:
	ds_read_b32 v7, v6
.LBB14_34:                              ; =>This Inner Loop Header: Depth=1
	v_and_or_b32 v8, s9, 63, v0
	v_lshlrev_b32_e32 v8, 2, v8
	ds_bpermute_b32 v8, v8, v9
	s_waitcnt lgkmcnt(0)
	v_cmp_eq_f32_e64 s[4:5], 0, v7
	s_and_saveexec_b64 s[16:17], s[0:1]
	s_cbranch_execz .LBB14_40
; %bb.35:                               ;   in Loop: Header=BB14_34 Depth=1
	v_div_scale_f32 v10, s[18:19], v7, v7, v8
	v_div_scale_f32 v11, vcc, v8, v7, v8
	v_rcp_f32_e32 v12, v10
	v_fma_f32 v13, -v10, v12, 1.0
	v_fmac_f32_e32 v12, v13, v12
	v_mul_f32_e32 v13, v11, v12
	v_fma_f32 v14, -v10, v13, v11
	v_fmac_f32_e32 v13, v14, v12
	v_fma_f32 v10, -v10, v13, v11
	v_div_fmas_f32 v10, v10, v12, v13
	v_cmp_le_i32_e32 vcc, s9, v4
	v_div_fixup_f32 v7, v10, v7, v8
	v_cndmask_b32_e64 v7, v7, v8, s[4:5]
	s_and_saveexec_b64 s[18:19], vcc
	s_xor_b64 s[18:19], exec, s[18:19]
; %bb.36:                               ;   in Loop: Header=BB14_34 Depth=1
	v_cmp_eq_u32_e32 vcc, s9, v4
	v_cndmask_b32_e32 v9, v9, v7, vcc
                                        ; implicit-def: $vgpr7
; %bb.37:                               ;   in Loop: Header=BB14_34 Depth=1
	s_andn2_saveexec_b64 s[18:19], s[18:19]
	s_cbranch_execz .LBB14_39
; %bb.38:                               ;   in Loop: Header=BB14_34 Depth=1
	ds_read_b32 v8, v5
	s_waitcnt lgkmcnt(0)
	v_fma_f32 v9, -v7, v8, v9
.LBB14_39:                              ;   in Loop: Header=BB14_34 Depth=1
	s_or_b64 exec, exec, s[18:19]
.LBB14_40:                              ;   in Loop: Header=BB14_34 Depth=1
	s_or_b64 exec, exec, s[16:17]
	s_or_b64 s[10:11], s[4:5], s[10:11]
	s_add_i32 s4, s9, -1
	s_add_i32 s5, s9, 1
	v_add_u32_e32 v5, 0xffffff80, v5
	s_cmp_gt_u32 s5, 1
	v_add_u32_e32 v6, 0xffffff7c, v6
	s_cbranch_scc0 .LBB14_42
; %bb.41:                               ;   in Loop: Header=BB14_34 Depth=1
	s_mov_b32 s9, s4
	s_and_b64 vcc, exec, s[2:3]
	v_mov_b32_e32 v7, 1.0
	s_cbranch_vccnz .LBB14_34
	s_branch .LBB14_33
.LBB14_42:
	s_and_b64 s[2:3], s[10:11], exec
	s_or_b64 exec, exec, s[6:7]
	s_and_saveexec_b64 s[4:5], s[0:1]
	s_cbranch_execz .LBB14_30
.LBB14_43:
	v_mad_u64_u32 v[5:6], s[0:1], v1, s33, v[4:5]
	v_mov_b32_e32 v0, s13
	v_ashrrev_i32_e32 v6, 31, v5
	v_lshlrev_b64 v[5:6], 2, v[5:6]
	v_add_co_u32_e32 v5, vcc, s12, v5
	v_addc_co_u32_e32 v6, vcc, v0, v6, vcc
	global_store_dword v[5:6], v9, off
	s_or_b64 exec, exec, s[4:5]
	v_cmp_eq_u32_e32 vcc, 0, v4
	s_and_b64 exec, exec, vcc
	s_cbranch_execz .LBB14_31
.LBB14_44:
	v_mov_b32_e32 v0, s15
	v_add_co_u32_e32 v2, vcc, s14, v2
	v_addc_co_u32_e32 v3, vcc, v0, v3, vcc
	v_mov_b32_e32 v0, 1
	s_waitcnt vmcnt(0) lgkmcnt(0)
	global_store_dword v[2:3], v0, off
	s_and_b64 exec, exec, s[2:3]
	s_cbranch_execz .LBB14_31
; %bb.45:
	s_mov_b64 s[0:1], exec
	v_add_u32_e32 v0, s8, v1
	s_brev_b32 s2, -2
.LBB14_46:                              ; =>This Inner Loop Header: Depth=1
	s_ff1_i32_b64 s3, s[0:1]
	v_readlane_b32 s6, v0, s3
	s_lshl_b64 s[4:5], 1, s3
	s_min_i32 s2, s2, s6
	s_andn2_b64 s[0:1], s[0:1], s[4:5]
	s_cmp_lg_u64 s[0:1], 0
	s_cbranch_scc1 .LBB14_46
; %bb.47:
	v_mbcnt_lo_u32_b32 v0, exec_lo, 0
	v_mbcnt_hi_u32_b32 v0, exec_hi, v0
	v_cmp_eq_u32_e32 vcc, 0, v0
	s_and_saveexec_b64 s[0:1], vcc
	s_xor_b64 s[0:1], exec, s[0:1]
	s_cbranch_execz .LBB14_31
; %bb.48:
	v_mov_b32_e32 v0, 0
	v_mov_b32_e32 v1, s2
	global_atomic_smin v0, v1, s[20:21]
	s_endpgm
	.section	.rodata,"a",@progbits
	.p2align	6, 0x0
	.amdhsa_kernel _ZN9rocsparseL18bsrsv_upper_sharedILj128ELj64ELi32ELb0EfEEviNS_24const_host_device_scalarIT3_EEPKiS5_PKS2_iS7_PS2_PiS9_S9_21rocsparse_index_base_20rocsparse_diag_type_20rocsparse_direction_b
		.amdhsa_group_segment_fixed_size 8448
		.amdhsa_private_segment_fixed_size 0
		.amdhsa_kernarg_size 104
		.amdhsa_user_sgpr_count 6
		.amdhsa_user_sgpr_private_segment_buffer 1
		.amdhsa_user_sgpr_dispatch_ptr 0
		.amdhsa_user_sgpr_queue_ptr 0
		.amdhsa_user_sgpr_kernarg_segment_ptr 1
		.amdhsa_user_sgpr_dispatch_id 0
		.amdhsa_user_sgpr_flat_scratch_init 0
		.amdhsa_user_sgpr_private_segment_size 0
		.amdhsa_uses_dynamic_stack 0
		.amdhsa_system_sgpr_private_segment_wavefront_offset 0
		.amdhsa_system_sgpr_workgroup_id_x 1
		.amdhsa_system_sgpr_workgroup_id_y 0
		.amdhsa_system_sgpr_workgroup_id_z 0
		.amdhsa_system_sgpr_workgroup_info 0
		.amdhsa_system_vgpr_workitem_id 0
		.amdhsa_next_free_vgpr 49
		.amdhsa_next_free_sgpr 98
		.amdhsa_reserve_vcc 1
		.amdhsa_reserve_flat_scratch 0
		.amdhsa_float_round_mode_32 0
		.amdhsa_float_round_mode_16_64 0
		.amdhsa_float_denorm_mode_32 3
		.amdhsa_float_denorm_mode_16_64 3
		.amdhsa_dx10_clamp 1
		.amdhsa_ieee_mode 1
		.amdhsa_fp16_overflow 0
		.amdhsa_exception_fp_ieee_invalid_op 0
		.amdhsa_exception_fp_denorm_src 0
		.amdhsa_exception_fp_ieee_div_zero 0
		.amdhsa_exception_fp_ieee_overflow 0
		.amdhsa_exception_fp_ieee_underflow 0
		.amdhsa_exception_fp_ieee_inexact 0
		.amdhsa_exception_int_div_zero 0
	.end_amdhsa_kernel
	.section	.text._ZN9rocsparseL18bsrsv_upper_sharedILj128ELj64ELi32ELb0EfEEviNS_24const_host_device_scalarIT3_EEPKiS5_PKS2_iS7_PS2_PiS9_S9_21rocsparse_index_base_20rocsparse_diag_type_20rocsparse_direction_b,"axG",@progbits,_ZN9rocsparseL18bsrsv_upper_sharedILj128ELj64ELi32ELb0EfEEviNS_24const_host_device_scalarIT3_EEPKiS5_PKS2_iS7_PS2_PiS9_S9_21rocsparse_index_base_20rocsparse_diag_type_20rocsparse_direction_b,comdat
.Lfunc_end14:
	.size	_ZN9rocsparseL18bsrsv_upper_sharedILj128ELj64ELi32ELb0EfEEviNS_24const_host_device_scalarIT3_EEPKiS5_PKS2_iS7_PS2_PiS9_S9_21rocsparse_index_base_20rocsparse_diag_type_20rocsparse_direction_b, .Lfunc_end14-_ZN9rocsparseL18bsrsv_upper_sharedILj128ELj64ELi32ELb0EfEEviNS_24const_host_device_scalarIT3_EEPKiS5_PKS2_iS7_PS2_PiS9_S9_21rocsparse_index_base_20rocsparse_diag_type_20rocsparse_direction_b
                                        ; -- End function
	.set _ZN9rocsparseL18bsrsv_upper_sharedILj128ELj64ELi32ELb0EfEEviNS_24const_host_device_scalarIT3_EEPKiS5_PKS2_iS7_PS2_PiS9_S9_21rocsparse_index_base_20rocsparse_diag_type_20rocsparse_direction_b.num_vgpr, 43
	.set _ZN9rocsparseL18bsrsv_upper_sharedILj128ELj64ELi32ELb0EfEEviNS_24const_host_device_scalarIT3_EEPKiS5_PKS2_iS7_PS2_PiS9_S9_21rocsparse_index_base_20rocsparse_diag_type_20rocsparse_direction_b.num_agpr, 0
	.set _ZN9rocsparseL18bsrsv_upper_sharedILj128ELj64ELi32ELb0EfEEviNS_24const_host_device_scalarIT3_EEPKiS5_PKS2_iS7_PS2_PiS9_S9_21rocsparse_index_base_20rocsparse_diag_type_20rocsparse_direction_b.numbered_sgpr, 35
	.set _ZN9rocsparseL18bsrsv_upper_sharedILj128ELj64ELi32ELb0EfEEviNS_24const_host_device_scalarIT3_EEPKiS5_PKS2_iS7_PS2_PiS9_S9_21rocsparse_index_base_20rocsparse_diag_type_20rocsparse_direction_b.num_named_barrier, 0
	.set _ZN9rocsparseL18bsrsv_upper_sharedILj128ELj64ELi32ELb0EfEEviNS_24const_host_device_scalarIT3_EEPKiS5_PKS2_iS7_PS2_PiS9_S9_21rocsparse_index_base_20rocsparse_diag_type_20rocsparse_direction_b.private_seg_size, 0
	.set _ZN9rocsparseL18bsrsv_upper_sharedILj128ELj64ELi32ELb0EfEEviNS_24const_host_device_scalarIT3_EEPKiS5_PKS2_iS7_PS2_PiS9_S9_21rocsparse_index_base_20rocsparse_diag_type_20rocsparse_direction_b.uses_vcc, 1
	.set _ZN9rocsparseL18bsrsv_upper_sharedILj128ELj64ELi32ELb0EfEEviNS_24const_host_device_scalarIT3_EEPKiS5_PKS2_iS7_PS2_PiS9_S9_21rocsparse_index_base_20rocsparse_diag_type_20rocsparse_direction_b.uses_flat_scratch, 0
	.set _ZN9rocsparseL18bsrsv_upper_sharedILj128ELj64ELi32ELb0EfEEviNS_24const_host_device_scalarIT3_EEPKiS5_PKS2_iS7_PS2_PiS9_S9_21rocsparse_index_base_20rocsparse_diag_type_20rocsparse_direction_b.has_dyn_sized_stack, 0
	.set _ZN9rocsparseL18bsrsv_upper_sharedILj128ELj64ELi32ELb0EfEEviNS_24const_host_device_scalarIT3_EEPKiS5_PKS2_iS7_PS2_PiS9_S9_21rocsparse_index_base_20rocsparse_diag_type_20rocsparse_direction_b.has_recursion, 0
	.set _ZN9rocsparseL18bsrsv_upper_sharedILj128ELj64ELi32ELb0EfEEviNS_24const_host_device_scalarIT3_EEPKiS5_PKS2_iS7_PS2_PiS9_S9_21rocsparse_index_base_20rocsparse_diag_type_20rocsparse_direction_b.has_indirect_call, 0
	.section	.AMDGPU.csdata,"",@progbits
; Kernel info:
; codeLenInByte = 2060
; TotalNumSgprs: 39
; NumVgprs: 43
; ScratchSize: 0
; MemoryBound: 0
; FloatMode: 240
; IeeeMode: 1
; LDSByteSize: 8448 bytes/workgroup (compile time only)
; SGPRBlocks: 12
; VGPRBlocks: 12
; NumSGPRsForWavesPerEU: 102
; NumVGPRsForWavesPerEU: 49
; Occupancy: 4
; WaveLimiterHint : 1
; COMPUTE_PGM_RSRC2:SCRATCH_EN: 0
; COMPUTE_PGM_RSRC2:USER_SGPR: 6
; COMPUTE_PGM_RSRC2:TRAP_HANDLER: 0
; COMPUTE_PGM_RSRC2:TGID_X_EN: 1
; COMPUTE_PGM_RSRC2:TGID_Y_EN: 0
; COMPUTE_PGM_RSRC2:TGID_Z_EN: 0
; COMPUTE_PGM_RSRC2:TIDIG_COMP_CNT: 0
	.section	.text._ZN9rocsparseL19bsrsv_lower_generalILj128ELj64ELb1EfEEviNS_24const_host_device_scalarIT2_EEPKiS5_PKS2_iS7_PS2_PiS9_S9_21rocsparse_index_base_20rocsparse_diag_type_20rocsparse_direction_b,"axG",@progbits,_ZN9rocsparseL19bsrsv_lower_generalILj128ELj64ELb1EfEEviNS_24const_host_device_scalarIT2_EEPKiS5_PKS2_iS7_PS2_PiS9_S9_21rocsparse_index_base_20rocsparse_diag_type_20rocsparse_direction_b,comdat
	.globl	_ZN9rocsparseL19bsrsv_lower_generalILj128ELj64ELb1EfEEviNS_24const_host_device_scalarIT2_EEPKiS5_PKS2_iS7_PS2_PiS9_S9_21rocsparse_index_base_20rocsparse_diag_type_20rocsparse_direction_b ; -- Begin function _ZN9rocsparseL19bsrsv_lower_generalILj128ELj64ELb1EfEEviNS_24const_host_device_scalarIT2_EEPKiS5_PKS2_iS7_PS2_PiS9_S9_21rocsparse_index_base_20rocsparse_diag_type_20rocsparse_direction_b
	.p2align	8
	.type	_ZN9rocsparseL19bsrsv_lower_generalILj128ELj64ELb1EfEEviNS_24const_host_device_scalarIT2_EEPKiS5_PKS2_iS7_PS2_PiS9_S9_21rocsparse_index_base_20rocsparse_diag_type_20rocsparse_direction_b,@function
_ZN9rocsparseL19bsrsv_lower_generalILj128ELj64ELb1EfEEviNS_24const_host_device_scalarIT2_EEPKiS5_PKS2_iS7_PS2_PiS9_S9_21rocsparse_index_base_20rocsparse_diag_type_20rocsparse_direction_b: ; @_ZN9rocsparseL19bsrsv_lower_generalILj128ELj64ELb1EfEEviNS_24const_host_device_scalarIT2_EEPKiS5_PKS2_iS7_PS2_PiS9_S9_21rocsparse_index_base_20rocsparse_diag_type_20rocsparse_direction_b
; %bb.0:
	s_load_dwordx4 s[16:19], s[4:5], 0x58
	s_load_dwordx2 s[20:21], s[4:5], 0x8
	s_waitcnt lgkmcnt(0)
	s_bitcmp1_b32 s19, 0
	s_cselect_b64 s[0:1], -1, 0
	s_and_b64 vcc, exec, s[0:1]
	s_cbranch_vccnz .LBB15_2
; %bb.1:
	s_load_dword s20, s[20:21], 0x0
.LBB15_2:
	s_nop 0
	s_load_dword s19, s[4:5], 0x0
	s_lshl_b32 s0, s6, 1
	v_lshrrev_b32_e32 v1, 6, v0
	s_and_b32 s0, s0, 0x3fffffe
	v_or_b32_e32 v1, s0, v1
	s_waitcnt lgkmcnt(0)
	v_cmp_gt_i32_e32 vcc, s19, v1
	s_and_saveexec_b64 s[0:1], vcc
	s_cbranch_execz .LBB15_45
; %bb.3:
	s_load_dwordx8 s[8:15], s[4:5], 0x38
	v_lshlrev_b32_e32 v1, 2, v1
	s_load_dword s33, s[4:5], 0x28
	v_and_b32_e32 v0, 63, v0
	s_waitcnt lgkmcnt(0)
	global_load_dword v1, v1, s[12:13]
	s_load_dwordx4 s[0:3], s[4:5], 0x10
	s_load_dwordx2 s[6:7], s[4:5], 0x20
	s_waitcnt lgkmcnt(0)
	v_mov_b32_e32 v5, s1
	s_waitcnt vmcnt(0)
	v_ashrrev_i32_e32 v2, 31, v1
	v_lshlrev_b64 v[2:3], 2, v[1:2]
	v_add_co_u32_e32 v4, vcc, s0, v2
	v_addc_co_u32_e32 v5, vcc, v5, v3, vcc
	global_load_dwordx2 v[5:6], v[4:5], off
	v_cmp_gt_i32_e64 s[0:1], s33, v0
	s_and_saveexec_b64 s[12:13], s[0:1]
	s_cbranch_execz .LBB15_6
; %bb.4:
	v_mad_u64_u32 v[7:8], s[22:23], v1, s33, v[0:1]
	s_load_dwordx2 s[4:5], s[4:5], 0x30
	v_ashrrev_i32_e32 v8, 31, v7
	v_lshlrev_b64 v[9:10], 2, v[7:8]
	s_waitcnt lgkmcnt(0)
	v_mov_b32_e32 v4, s5
	v_add_co_u32_e32 v7, vcc, s4, v9
	v_addc_co_u32_e32 v8, vcc, v4, v10, vcc
	v_mov_b32_e32 v4, s9
	v_add_co_u32_e32 v9, vcc, s8, v9
	v_addc_co_u32_e32 v10, vcc, v4, v10, vcc
	s_mov_b64 s[4:5], 0
	v_mov_b32_e32 v4, v0
.LBB15_5:                               ; =>This Inner Loop Header: Depth=1
	global_load_dword v11, v[7:8], off
	v_add_co_u32_e32 v7, vcc, 0x100, v7
	v_add_u32_e32 v4, 64, v4
	v_addc_co_u32_e32 v8, vcc, 0, v8, vcc
	v_cmp_le_i32_e32 vcc, s33, v4
	s_or_b64 s[4:5], vcc, s[4:5]
	s_waitcnt vmcnt(0)
	v_mul_f32_e32 v11, s20, v11
	global_store_dword v[9:10], v11, off
	v_add_co_u32_e32 v9, vcc, 0x100, v9
	v_addc_co_u32_e32 v10, vcc, 0, v10, vcc
	s_andn2_b64 exec, exec, s[4:5]
	s_cbranch_execnz .LBB15_5
.LBB15_6:
	s_or_b64 exec, exec, s[12:13]
	v_mul_lo_u32 v9, v1, s33
	s_waitcnt vmcnt(0)
	v_subrev_u32_e32 v4, s16, v5
	v_cmp_lt_i32_e32 vcc, v5, v6
	v_mov_b32_e32 v5, s19
	s_and_saveexec_b64 s[4:5], vcc
	s_cbranch_execz .LBB15_26
; %bb.7:
	v_mad_u64_u32 v[7:8], s[12:13], s33, v4, v[0:1]
	s_cmp_lg_u32 s18, 0
	v_subrev_u32_e32 v10, s16, v6
	v_mul_lo_u32 v11, s33, v7
	s_cselect_b64 s[12:13], -1, 0
	s_mul_i32 s19, s33, s33
	s_lshl_b32 s34, s33, 6
	s_mov_b64 s[20:21], 0
	v_mov_b32_e32 v12, s3
                                        ; implicit-def: $sgpr22_sgpr23
	s_branch .LBB15_10
.LBB15_8:                               ;   in Loop: Header=BB15_10 Depth=1
	s_or_b64 exec, exec, s[26:27]
	v_add_u32_e32 v4, 1, v4
	v_cmp_ge_i32_e32 vcc, v4, v10
	s_andn2_b64 s[22:23], s[22:23], exec
	s_and_b64 s[26:27], vcc, exec
	v_add_u32_e32 v11, s19, v11
	s_or_b64 s[22:23], s[22:23], s[26:27]
.LBB15_9:                               ;   in Loop: Header=BB15_10 Depth=1
	s_or_b64 exec, exec, s[24:25]
	s_and_b64 s[24:25], exec, s[22:23]
	s_or_b64 s[20:21], s[24:25], s[20:21]
	s_andn2_b64 exec, exec, s[20:21]
	s_cbranch_execz .LBB15_25
.LBB15_10:                              ; =>This Loop Header: Depth=1
                                        ;     Child Loop BB15_14 Depth 2
                                        ;       Child Loop BB15_15 Depth 3
                                        ;     Child Loop BB15_19 Depth 2
                                        ;       Child Loop BB15_21 Depth 3
	v_ashrrev_i32_e32 v5, 31, v4
	v_lshlrev_b64 v[5:6], 2, v[4:5]
	s_or_b64 s[22:23], s[22:23], exec
	v_add_co_u32_e32 v5, vcc, s2, v5
	v_addc_co_u32_e32 v6, vcc, v12, v6, vcc
	global_load_dword v5, v[5:6], off
	s_waitcnt vmcnt(0)
	v_subrev_u32_e32 v5, s16, v5
	v_cmp_lt_i32_e32 vcc, v5, v1
	s_and_saveexec_b64 s[24:25], vcc
	s_cbranch_execz .LBB15_9
; %bb.11:                               ;   in Loop: Header=BB15_10 Depth=1
	v_ashrrev_i32_e32 v6, 31, v5
	v_lshlrev_b64 v[6:7], 2, v[5:6]
	v_mov_b32_e32 v8, s11
	v_add_co_u32_e32 v6, vcc, s10, v6
	v_addc_co_u32_e32 v7, vcc, v8, v7, vcc
	global_load_dword v8, v[6:7], off glc
	s_waitcnt vmcnt(0)
	v_cmp_eq_u32_e32 vcc, 0, v8
	s_and_saveexec_b64 s[26:27], vcc
	s_cbranch_execz .LBB15_16
; %bb.12:                               ;   in Loop: Header=BB15_10 Depth=1
	s_mov_b32 s3, 0
	s_mov_b64 s[28:29], 0
	s_branch .LBB15_14
.LBB15_13:                              ;   in Loop: Header=BB15_14 Depth=2
	global_load_dword v8, v[6:7], off glc
	s_cmpk_lt_u32 s3, 0xf43
	s_cselect_b64 s[30:31], -1, 0
	s_cmp_lg_u64 s[30:31], 0
	s_addc_u32 s3, s3, 0
	s_waitcnt vmcnt(0)
	v_cmp_ne_u32_e32 vcc, 0, v8
	s_or_b64 s[28:29], vcc, s[28:29]
	s_andn2_b64 exec, exec, s[28:29]
	s_cbranch_execz .LBB15_16
.LBB15_14:                              ;   Parent Loop BB15_10 Depth=1
                                        ; =>  This Loop Header: Depth=2
                                        ;       Child Loop BB15_15 Depth 3
	s_cmp_eq_u32 s3, 0
	s_mov_b32 s30, s3
	s_cbranch_scc1 .LBB15_13
.LBB15_15:                              ;   Parent Loop BB15_10 Depth=1
                                        ;     Parent Loop BB15_14 Depth=2
                                        ; =>    This Inner Loop Header: Depth=3
	s_add_i32 s30, s30, -1
	s_cmp_eq_u32 s30, 0
	s_sleep 1
	s_cbranch_scc0 .LBB15_15
	s_branch .LBB15_13
.LBB15_16:                              ;   in Loop: Header=BB15_10 Depth=1
	s_or_b64 exec, exec, s[26:27]
	buffer_wbinvl1_vol
	s_and_saveexec_b64 s[26:27], s[0:1]
	s_cbranch_execz .LBB15_8
; %bb.17:                               ;   in Loop: Header=BB15_10 Depth=1
	v_mul_lo_u32 v13, v4, s33
	v_mul_lo_u32 v14, v5, s33
	s_mov_b64 s[28:29], 0
	v_mov_b32_e32 v15, v11
	v_mov_b32_e32 v6, v0
	s_branch .LBB15_19
.LBB15_18:                              ;   in Loop: Header=BB15_19 Depth=2
	v_add_u32_e32 v7, v6, v9
	v_ashrrev_i32_e32 v8, 31, v7
	v_lshlrev_b64 v[7:8], 2, v[7:8]
	v_mov_b32_e32 v17, s9
	v_add_co_u32_e32 v7, vcc, s8, v7
	v_addc_co_u32_e32 v8, vcc, v17, v8, vcc
	global_load_dword v17, v[7:8], off
	v_add_u32_e32 v6, 64, v6
	v_cmp_le_i32_e32 vcc, s33, v6
	s_or_b64 s[28:29], vcc, s[28:29]
	v_add_u32_e32 v15, s34, v15
	s_waitcnt vmcnt(0)
	v_sub_f32_e32 v16, v17, v16
	global_store_dword v[7:8], v16, off
	s_andn2_b64 exec, exec, s[28:29]
	s_cbranch_execz .LBB15_8
.LBB15_19:                              ;   Parent Loop BB15_10 Depth=1
                                        ; =>  This Loop Header: Depth=2
                                        ;       Child Loop BB15_21 Depth 3
	v_mov_b32_e32 v16, 0
	s_mov_b32 s3, 0
	s_branch .LBB15_21
.LBB15_20:                              ;   in Loop: Header=BB15_21 Depth=3
	v_ashrrev_i32_e32 v8, 31, v7
	v_lshlrev_b64 v[7:8], 2, v[7:8]
	v_mov_b32_e32 v17, s7
	v_add_co_u32_e32 v7, vcc, s6, v7
	v_addc_co_u32_e32 v8, vcc, v17, v8, vcc
	global_load_dword v17, v[7:8], off
	v_add_u32_e32 v7, s3, v14
	v_ashrrev_i32_e32 v8, 31, v7
	v_lshlrev_b64 v[7:8], 2, v[7:8]
	v_mov_b32_e32 v18, s9
	v_add_co_u32_e32 v7, vcc, s8, v7
	v_addc_co_u32_e32 v8, vcc, v18, v8, vcc
	global_load_dword v7, v[7:8], off
	s_add_i32 s3, s3, 1
	s_cmp_eq_u32 s33, s3
	s_waitcnt vmcnt(0)
	v_fmac_f32_e32 v16, v17, v7
	s_cbranch_scc1 .LBB15_18
.LBB15_21:                              ;   Parent Loop BB15_10 Depth=1
                                        ;     Parent Loop BB15_19 Depth=2
                                        ; =>    This Inner Loop Header: Depth=3
	s_and_b64 vcc, exec, s[12:13]
	s_cbranch_vccz .LBB15_23
; %bb.22:                               ;   in Loop: Header=BB15_21 Depth=3
	v_add_u32_e32 v7, s3, v13
	v_mad_u64_u32 v[7:8], s[30:31], v7, s33, v[6:7]
	s_cbranch_execnz .LBB15_20
	s_branch .LBB15_24
.LBB15_23:                              ;   in Loop: Header=BB15_21 Depth=3
                                        ; implicit-def: $vgpr7
.LBB15_24:                              ;   in Loop: Header=BB15_21 Depth=3
	v_add_u32_e32 v7, s3, v15
	s_branch .LBB15_20
.LBB15_25:
	s_or_b64 exec, exec, s[20:21]
.LBB15_26:
	s_or_b64 exec, exec, s[4:5]
	s_cmp_gt_i32 s33, 0
	v_cmp_eq_u32_e32 vcc, v5, v1
	s_cselect_b64 s[0:1], -1, 0
	s_mov_b32 s22, 0
	s_and_b64 s[4:5], s[0:1], vcc
	s_mov_b64 s[0:1], 0
	s_and_saveexec_b64 s[2:3], s[4:5]
	s_cbranch_execz .LBB15_39
; %bb.27:
	v_mul_lo_u32 v6, v4, s33
	s_cmp_eq_u32 s17, 0
	s_cselect_b64 s[0:1], -1, 0
	s_cmp_lg_u32 s18, 0
	v_add_u32_e32 v4, v6, v0
	v_mul_lo_u32 v4, s33, v4
	v_add_u32_e32 v7, 1, v0
	s_cselect_b64 s[4:5], -1, 0
	s_add_i32 s17, s33, 1
	v_add_u32_e32 v8, s33, v4
	v_cndmask_b32_e64 v4, 0, 1, s[0:1]
	s_lshl_b32 s23, s33, 6
	s_mov_b64 s[18:19], 0
	v_cmp_ne_u32_e64 s[0:1], 1, v4
	v_mov_b32_e32 v10, s9
                                        ; implicit-def: $sgpr12_sgpr13
	s_and_b64 vcc, exec, s[0:1]
	v_mov_b32_e32 v12, 1.0
	s_cbranch_vccnz .LBB15_29
.LBB15_28:
	v_add_u32_e32 v4, s22, v6
	v_mul_lo_u32 v4, v4, s33
	s_waitcnt vmcnt(0)
	v_mov_b32_e32 v11, s7
	v_add_u32_e32 v4, s22, v4
	v_ashrrev_i32_e32 v5, 31, v4
	v_lshlrev_b64 v[4:5], 2, v[4:5]
	v_add_co_u32_e32 v4, vcc, s6, v4
	v_addc_co_u32_e32 v5, vcc, v11, v5, vcc
	global_load_dword v12, v[4:5], off
.LBB15_29:                              ; =>This Loop Header: Depth=1
                                        ;     Child Loop BB15_34 Depth 2
	v_add_u32_e32 v4, s22, v9
	v_ashrrev_i32_e32 v5, 31, v4
	v_lshlrev_b64 v[4:5], 2, v[4:5]
	s_or_b64 s[12:13], s[12:13], exec
	v_add_co_u32_e32 v4, vcc, s8, v4
	v_addc_co_u32_e32 v5, vcc, v10, v5, vcc
	global_load_dword v11, v[4:5], off
	s_waitcnt vmcnt(1)
	v_cmp_neq_f32_e32 vcc, 0, v12
	s_and_saveexec_b64 s[20:21], vcc
	s_cbranch_execz .LBB15_31
; %bb.30:                               ;   in Loop: Header=BB15_29 Depth=1
	s_waitcnt vmcnt(0)
	v_div_scale_f32 v13, s[24:25], v12, v12, v11
	v_div_scale_f32 v14, vcc, v11, v12, v11
	s_andn2_b64 s[12:13], s[12:13], exec
	s_and_b64 s[18:19], s[18:19], exec
	s_or_b64 s[12:13], s[12:13], s[18:19]
	v_rcp_f32_e32 v15, v13
	v_fma_f32 v16, -v13, v15, 1.0
	v_fmac_f32_e32 v15, v16, v15
	v_mul_f32_e32 v16, v14, v15
	v_fma_f32 v17, -v13, v16, v14
	v_fmac_f32_e32 v16, v17, v15
	v_fma_f32 v13, -v13, v16, v14
	v_div_fmas_f32 v13, v13, v15, v16
	v_div_fixup_f32 v11, v13, v12, v11
	global_store_dword v[4:5], v11, off
.LBB15_31:                              ;   in Loop: Header=BB15_29 Depth=1
	s_or_b64 exec, exec, s[20:21]
	v_add_u32_e32 v12, s22, v7
	v_cmp_gt_i32_e32 vcc, s33, v12
	s_and_saveexec_b64 s[18:19], vcc
	s_cbranch_execz .LBB15_36
; %bb.32:                               ;   in Loop: Header=BB15_29 Depth=1
	v_add_u32_e32 v4, s22, v6
	v_mul_lo_u32 v13, v4, s33
	s_mov_b64 s[20:21], 0
	v_mov_b32_e32 v14, v8
	s_branch .LBB15_34
.LBB15_33:                              ;   in Loop: Header=BB15_34 Depth=2
	v_ashrrev_i32_e32 v5, 31, v4
	v_lshlrev_b64 v[4:5], 2, v[4:5]
	v_mov_b32_e32 v15, s7
	v_add_co_u32_e32 v4, vcc, s6, v4
	v_addc_co_u32_e32 v5, vcc, v15, v5, vcc
	global_load_dword v15, v[4:5], off
	v_add_u32_e32 v4, v9, v12
	v_ashrrev_i32_e32 v5, 31, v4
	v_lshlrev_b64 v[4:5], 2, v[4:5]
	v_mov_b32_e32 v16, s9
	v_add_co_u32_e32 v4, vcc, s8, v4
	v_addc_co_u32_e32 v5, vcc, v16, v5, vcc
	global_load_dword v16, v[4:5], off
	v_add_u32_e32 v12, 64, v12
	v_cmp_le_i32_e32 vcc, s33, v12
	s_or_b64 s[20:21], vcc, s[20:21]
	v_add_u32_e32 v14, s23, v14
	s_waitcnt vmcnt(0)
	v_fma_f32 v15, -v11, v15, v16
	global_store_dword v[4:5], v15, off
	s_andn2_b64 exec, exec, s[20:21]
	s_cbranch_execz .LBB15_36
.LBB15_34:                              ;   Parent Loop BB15_29 Depth=1
                                        ; =>  This Inner Loop Header: Depth=2
	s_andn2_b64 vcc, exec, s[4:5]
	v_mov_b32_e32 v4, v14
	s_cbranch_vccnz .LBB15_33
; %bb.35:                               ;   in Loop: Header=BB15_34 Depth=2
	v_add_u32_e32 v4, v12, v13
	s_branch .LBB15_33
.LBB15_36:                              ;   in Loop: Header=BB15_29 Depth=1
	s_or_b64 exec, exec, s[18:19]
	s_add_i32 s22, s22, 1
	s_cmp_eq_u32 s22, s33
	v_add_u32_e32 v8, s17, v8
	s_cbranch_scc1 .LBB15_38
; %bb.37:                               ;   in Loop: Header=BB15_29 Depth=1
	s_mov_b64 s[18:19], s[12:13]
	s_and_b64 vcc, exec, s[0:1]
	v_mov_b32_e32 v12, 1.0
	s_cbranch_vccnz .LBB15_29
	s_branch .LBB15_28
.LBB15_38:
	s_and_b64 s[0:1], s[12:13], exec
.LBB15_39:
	s_or_b64 exec, exec, s[2:3]
	v_cmp_eq_u32_e32 vcc, 0, v0
	s_and_b64 exec, exec, vcc
	s_cbranch_execz .LBB15_45
; %bb.40:
	v_mov_b32_e32 v0, s11
	v_add_co_u32_e32 v2, vcc, s10, v2
	v_addc_co_u32_e32 v3, vcc, v0, v3, vcc
	v_mov_b32_e32 v0, 1
	s_waitcnt vmcnt(0)
	global_store_dword v[2:3], v0, off
	s_and_b64 exec, exec, s[0:1]
	s_cbranch_execz .LBB15_45
; %bb.41:
	s_mov_b64 s[0:1], exec
	v_add_u32_e32 v0, s16, v1
	s_brev_b32 s2, -2
.LBB15_42:                              ; =>This Inner Loop Header: Depth=1
	s_ff1_i32_b64 s3, s[0:1]
	v_readlane_b32 s6, v0, s3
	s_lshl_b64 s[4:5], 1, s3
	s_min_i32 s2, s2, s6
	s_andn2_b64 s[0:1], s[0:1], s[4:5]
	s_cmp_lg_u64 s[0:1], 0
	s_cbranch_scc1 .LBB15_42
; %bb.43:
	v_mbcnt_lo_u32_b32 v0, exec_lo, 0
	v_mbcnt_hi_u32_b32 v0, exec_hi, v0
	v_cmp_eq_u32_e32 vcc, 0, v0
	s_and_saveexec_b64 s[0:1], vcc
	s_xor_b64 s[0:1], exec, s[0:1]
	s_cbranch_execz .LBB15_45
; %bb.44:
	v_mov_b32_e32 v0, 0
	v_mov_b32_e32 v1, s2
	global_atomic_smin v0, v1, s[14:15]
.LBB15_45:
	s_endpgm
	.section	.rodata,"a",@progbits
	.p2align	6, 0x0
	.amdhsa_kernel _ZN9rocsparseL19bsrsv_lower_generalILj128ELj64ELb1EfEEviNS_24const_host_device_scalarIT2_EEPKiS5_PKS2_iS7_PS2_PiS9_S9_21rocsparse_index_base_20rocsparse_diag_type_20rocsparse_direction_b
		.amdhsa_group_segment_fixed_size 0
		.amdhsa_private_segment_fixed_size 0
		.amdhsa_kernarg_size 104
		.amdhsa_user_sgpr_count 6
		.amdhsa_user_sgpr_private_segment_buffer 1
		.amdhsa_user_sgpr_dispatch_ptr 0
		.amdhsa_user_sgpr_queue_ptr 0
		.amdhsa_user_sgpr_kernarg_segment_ptr 1
		.amdhsa_user_sgpr_dispatch_id 0
		.amdhsa_user_sgpr_flat_scratch_init 0
		.amdhsa_user_sgpr_private_segment_size 0
		.amdhsa_uses_dynamic_stack 0
		.amdhsa_system_sgpr_private_segment_wavefront_offset 0
		.amdhsa_system_sgpr_workgroup_id_x 1
		.amdhsa_system_sgpr_workgroup_id_y 0
		.amdhsa_system_sgpr_workgroup_id_z 0
		.amdhsa_system_sgpr_workgroup_info 0
		.amdhsa_system_vgpr_workitem_id 0
		.amdhsa_next_free_vgpr 19
		.amdhsa_next_free_sgpr 35
		.amdhsa_reserve_vcc 1
		.amdhsa_reserve_flat_scratch 0
		.amdhsa_float_round_mode_32 0
		.amdhsa_float_round_mode_16_64 0
		.amdhsa_float_denorm_mode_32 3
		.amdhsa_float_denorm_mode_16_64 3
		.amdhsa_dx10_clamp 1
		.amdhsa_ieee_mode 1
		.amdhsa_fp16_overflow 0
		.amdhsa_exception_fp_ieee_invalid_op 0
		.amdhsa_exception_fp_denorm_src 0
		.amdhsa_exception_fp_ieee_div_zero 0
		.amdhsa_exception_fp_ieee_overflow 0
		.amdhsa_exception_fp_ieee_underflow 0
		.amdhsa_exception_fp_ieee_inexact 0
		.amdhsa_exception_int_div_zero 0
	.end_amdhsa_kernel
	.section	.text._ZN9rocsparseL19bsrsv_lower_generalILj128ELj64ELb1EfEEviNS_24const_host_device_scalarIT2_EEPKiS5_PKS2_iS7_PS2_PiS9_S9_21rocsparse_index_base_20rocsparse_diag_type_20rocsparse_direction_b,"axG",@progbits,_ZN9rocsparseL19bsrsv_lower_generalILj128ELj64ELb1EfEEviNS_24const_host_device_scalarIT2_EEPKiS5_PKS2_iS7_PS2_PiS9_S9_21rocsparse_index_base_20rocsparse_diag_type_20rocsparse_direction_b,comdat
.Lfunc_end15:
	.size	_ZN9rocsparseL19bsrsv_lower_generalILj128ELj64ELb1EfEEviNS_24const_host_device_scalarIT2_EEPKiS5_PKS2_iS7_PS2_PiS9_S9_21rocsparse_index_base_20rocsparse_diag_type_20rocsparse_direction_b, .Lfunc_end15-_ZN9rocsparseL19bsrsv_lower_generalILj128ELj64ELb1EfEEviNS_24const_host_device_scalarIT2_EEPKiS5_PKS2_iS7_PS2_PiS9_S9_21rocsparse_index_base_20rocsparse_diag_type_20rocsparse_direction_b
                                        ; -- End function
	.set _ZN9rocsparseL19bsrsv_lower_generalILj128ELj64ELb1EfEEviNS_24const_host_device_scalarIT2_EEPKiS5_PKS2_iS7_PS2_PiS9_S9_21rocsparse_index_base_20rocsparse_diag_type_20rocsparse_direction_b.num_vgpr, 19
	.set _ZN9rocsparseL19bsrsv_lower_generalILj128ELj64ELb1EfEEviNS_24const_host_device_scalarIT2_EEPKiS5_PKS2_iS7_PS2_PiS9_S9_21rocsparse_index_base_20rocsparse_diag_type_20rocsparse_direction_b.num_agpr, 0
	.set _ZN9rocsparseL19bsrsv_lower_generalILj128ELj64ELb1EfEEviNS_24const_host_device_scalarIT2_EEPKiS5_PKS2_iS7_PS2_PiS9_S9_21rocsparse_index_base_20rocsparse_diag_type_20rocsparse_direction_b.numbered_sgpr, 35
	.set _ZN9rocsparseL19bsrsv_lower_generalILj128ELj64ELb1EfEEviNS_24const_host_device_scalarIT2_EEPKiS5_PKS2_iS7_PS2_PiS9_S9_21rocsparse_index_base_20rocsparse_diag_type_20rocsparse_direction_b.num_named_barrier, 0
	.set _ZN9rocsparseL19bsrsv_lower_generalILj128ELj64ELb1EfEEviNS_24const_host_device_scalarIT2_EEPKiS5_PKS2_iS7_PS2_PiS9_S9_21rocsparse_index_base_20rocsparse_diag_type_20rocsparse_direction_b.private_seg_size, 0
	.set _ZN9rocsparseL19bsrsv_lower_generalILj128ELj64ELb1EfEEviNS_24const_host_device_scalarIT2_EEPKiS5_PKS2_iS7_PS2_PiS9_S9_21rocsparse_index_base_20rocsparse_diag_type_20rocsparse_direction_b.uses_vcc, 1
	.set _ZN9rocsparseL19bsrsv_lower_generalILj128ELj64ELb1EfEEviNS_24const_host_device_scalarIT2_EEPKiS5_PKS2_iS7_PS2_PiS9_S9_21rocsparse_index_base_20rocsparse_diag_type_20rocsparse_direction_b.uses_flat_scratch, 0
	.set _ZN9rocsparseL19bsrsv_lower_generalILj128ELj64ELb1EfEEviNS_24const_host_device_scalarIT2_EEPKiS5_PKS2_iS7_PS2_PiS9_S9_21rocsparse_index_base_20rocsparse_diag_type_20rocsparse_direction_b.has_dyn_sized_stack, 0
	.set _ZN9rocsparseL19bsrsv_lower_generalILj128ELj64ELb1EfEEviNS_24const_host_device_scalarIT2_EEPKiS5_PKS2_iS7_PS2_PiS9_S9_21rocsparse_index_base_20rocsparse_diag_type_20rocsparse_direction_b.has_recursion, 0
	.set _ZN9rocsparseL19bsrsv_lower_generalILj128ELj64ELb1EfEEviNS_24const_host_device_scalarIT2_EEPKiS5_PKS2_iS7_PS2_PiS9_S9_21rocsparse_index_base_20rocsparse_diag_type_20rocsparse_direction_b.has_indirect_call, 0
	.section	.AMDGPU.csdata,"",@progbits
; Kernel info:
; codeLenInByte = 1612
; TotalNumSgprs: 39
; NumVgprs: 19
; ScratchSize: 0
; MemoryBound: 0
; FloatMode: 240
; IeeeMode: 1
; LDSByteSize: 0 bytes/workgroup (compile time only)
; SGPRBlocks: 4
; VGPRBlocks: 4
; NumSGPRsForWavesPerEU: 39
; NumVGPRsForWavesPerEU: 19
; Occupancy: 10
; WaveLimiterHint : 1
; COMPUTE_PGM_RSRC2:SCRATCH_EN: 0
; COMPUTE_PGM_RSRC2:USER_SGPR: 6
; COMPUTE_PGM_RSRC2:TRAP_HANDLER: 0
; COMPUTE_PGM_RSRC2:TGID_X_EN: 1
; COMPUTE_PGM_RSRC2:TGID_Y_EN: 0
; COMPUTE_PGM_RSRC2:TGID_Z_EN: 0
; COMPUTE_PGM_RSRC2:TIDIG_COMP_CNT: 0
	.section	.text._ZN9rocsparseL19bsrsv_lower_generalILj128ELj64ELb0EfEEviNS_24const_host_device_scalarIT2_EEPKiS5_PKS2_iS7_PS2_PiS9_S9_21rocsparse_index_base_20rocsparse_diag_type_20rocsparse_direction_b,"axG",@progbits,_ZN9rocsparseL19bsrsv_lower_generalILj128ELj64ELb0EfEEviNS_24const_host_device_scalarIT2_EEPKiS5_PKS2_iS7_PS2_PiS9_S9_21rocsparse_index_base_20rocsparse_diag_type_20rocsparse_direction_b,comdat
	.globl	_ZN9rocsparseL19bsrsv_lower_generalILj128ELj64ELb0EfEEviNS_24const_host_device_scalarIT2_EEPKiS5_PKS2_iS7_PS2_PiS9_S9_21rocsparse_index_base_20rocsparse_diag_type_20rocsparse_direction_b ; -- Begin function _ZN9rocsparseL19bsrsv_lower_generalILj128ELj64ELb0EfEEviNS_24const_host_device_scalarIT2_EEPKiS5_PKS2_iS7_PS2_PiS9_S9_21rocsparse_index_base_20rocsparse_diag_type_20rocsparse_direction_b
	.p2align	8
	.type	_ZN9rocsparseL19bsrsv_lower_generalILj128ELj64ELb0EfEEviNS_24const_host_device_scalarIT2_EEPKiS5_PKS2_iS7_PS2_PiS9_S9_21rocsparse_index_base_20rocsparse_diag_type_20rocsparse_direction_b,@function
_ZN9rocsparseL19bsrsv_lower_generalILj128ELj64ELb0EfEEviNS_24const_host_device_scalarIT2_EEPKiS5_PKS2_iS7_PS2_PiS9_S9_21rocsparse_index_base_20rocsparse_diag_type_20rocsparse_direction_b: ; @_ZN9rocsparseL19bsrsv_lower_generalILj128ELj64ELb0EfEEviNS_24const_host_device_scalarIT2_EEPKiS5_PKS2_iS7_PS2_PiS9_S9_21rocsparse_index_base_20rocsparse_diag_type_20rocsparse_direction_b
; %bb.0:
	s_load_dwordx4 s[16:19], s[4:5], 0x58
	s_load_dwordx2 s[20:21], s[4:5], 0x8
	s_waitcnt lgkmcnt(0)
	s_bitcmp1_b32 s19, 0
	s_cselect_b64 s[0:1], -1, 0
	s_and_b64 vcc, exec, s[0:1]
	s_cbranch_vccnz .LBB16_2
; %bb.1:
	s_load_dword s20, s[20:21], 0x0
.LBB16_2:
	s_nop 0
	s_load_dword s19, s[4:5], 0x0
	s_lshl_b32 s0, s6, 1
	v_lshrrev_b32_e32 v1, 6, v0
	s_and_b32 s0, s0, 0x3fffffe
	v_or_b32_e32 v1, s0, v1
	s_waitcnt lgkmcnt(0)
	v_cmp_gt_i32_e32 vcc, s19, v1
	s_and_saveexec_b64 s[0:1], vcc
	s_cbranch_execz .LBB16_43
; %bb.3:
	s_load_dwordx8 s[8:15], s[4:5], 0x38
	v_lshlrev_b32_e32 v1, 2, v1
	s_load_dword s33, s[4:5], 0x28
	v_and_b32_e32 v0, 63, v0
	s_waitcnt lgkmcnt(0)
	global_load_dword v1, v1, s[12:13]
	s_load_dwordx4 s[0:3], s[4:5], 0x10
	s_load_dwordx2 s[6:7], s[4:5], 0x20
	s_waitcnt lgkmcnt(0)
	v_mov_b32_e32 v5, s1
	s_waitcnt vmcnt(0)
	v_ashrrev_i32_e32 v2, 31, v1
	v_lshlrev_b64 v[2:3], 2, v[1:2]
	v_add_co_u32_e32 v4, vcc, s0, v2
	v_addc_co_u32_e32 v5, vcc, v5, v3, vcc
	global_load_dwordx2 v[5:6], v[4:5], off
	v_cmp_gt_i32_e64 s[0:1], s33, v0
	s_and_saveexec_b64 s[12:13], s[0:1]
	s_cbranch_execz .LBB16_6
; %bb.4:
	v_mad_u64_u32 v[7:8], s[22:23], v1, s33, v[0:1]
	s_load_dwordx2 s[4:5], s[4:5], 0x30
	v_ashrrev_i32_e32 v8, 31, v7
	v_lshlrev_b64 v[9:10], 2, v[7:8]
	s_waitcnt lgkmcnt(0)
	v_mov_b32_e32 v4, s5
	v_add_co_u32_e32 v7, vcc, s4, v9
	v_addc_co_u32_e32 v8, vcc, v4, v10, vcc
	v_mov_b32_e32 v4, s9
	v_add_co_u32_e32 v9, vcc, s8, v9
	v_addc_co_u32_e32 v10, vcc, v4, v10, vcc
	s_mov_b64 s[4:5], 0
	v_mov_b32_e32 v4, v0
.LBB16_5:                               ; =>This Inner Loop Header: Depth=1
	global_load_dword v11, v[7:8], off
	v_add_co_u32_e32 v7, vcc, 0x100, v7
	v_add_u32_e32 v4, 64, v4
	v_addc_co_u32_e32 v8, vcc, 0, v8, vcc
	v_cmp_le_i32_e32 vcc, s33, v4
	s_or_b64 s[4:5], vcc, s[4:5]
	s_waitcnt vmcnt(0)
	v_mul_f32_e32 v11, s20, v11
	global_store_dword v[9:10], v11, off
	v_add_co_u32_e32 v9, vcc, 0x100, v9
	v_addc_co_u32_e32 v10, vcc, 0, v10, vcc
	s_andn2_b64 exec, exec, s[4:5]
	s_cbranch_execnz .LBB16_5
.LBB16_6:
	s_or_b64 exec, exec, s[12:13]
	v_mul_lo_u32 v9, v1, s33
	s_waitcnt vmcnt(0)
	v_subrev_u32_e32 v4, s16, v5
	v_cmp_lt_i32_e32 vcc, v5, v6
	v_mov_b32_e32 v5, s19
	s_and_saveexec_b64 s[4:5], vcc
	s_cbranch_execz .LBB16_24
; %bb.7:
	v_mad_u64_u32 v[7:8], s[12:13], s33, v4, v[0:1]
	s_cmp_lg_u32 s18, 0
	v_subrev_u32_e32 v10, s16, v6
	v_mul_lo_u32 v11, s33, v7
	s_cselect_b64 s[12:13], -1, 0
	s_mul_i32 s19, s33, s33
	s_lshl_b32 s34, s33, 6
	s_mov_b64 s[20:21], 0
	v_mov_b32_e32 v12, s3
                                        ; implicit-def: $sgpr22_sgpr23
	s_branch .LBB16_10
.LBB16_8:                               ;   in Loop: Header=BB16_10 Depth=1
	s_or_b64 exec, exec, s[26:27]
	v_add_u32_e32 v4, 1, v4
	v_cmp_ge_i32_e32 vcc, v4, v10
	s_andn2_b64 s[22:23], s[22:23], exec
	s_and_b64 s[26:27], vcc, exec
	v_add_u32_e32 v11, s19, v11
	s_or_b64 s[22:23], s[22:23], s[26:27]
.LBB16_9:                               ;   in Loop: Header=BB16_10 Depth=1
	s_or_b64 exec, exec, s[24:25]
	s_and_b64 s[24:25], exec, s[22:23]
	s_or_b64 s[20:21], s[24:25], s[20:21]
	s_andn2_b64 exec, exec, s[20:21]
	s_cbranch_execz .LBB16_23
.LBB16_10:                              ; =>This Loop Header: Depth=1
                                        ;     Child Loop BB16_13 Depth 2
                                        ;     Child Loop BB16_17 Depth 2
                                        ;       Child Loop BB16_19 Depth 3
	v_ashrrev_i32_e32 v5, 31, v4
	v_lshlrev_b64 v[5:6], 2, v[4:5]
	s_or_b64 s[22:23], s[22:23], exec
	v_add_co_u32_e32 v5, vcc, s2, v5
	v_addc_co_u32_e32 v6, vcc, v12, v6, vcc
	global_load_dword v5, v[5:6], off
	s_waitcnt vmcnt(0)
	v_subrev_u32_e32 v5, s16, v5
	v_cmp_lt_i32_e32 vcc, v5, v1
	s_and_saveexec_b64 s[24:25], vcc
	s_cbranch_execz .LBB16_9
; %bb.11:                               ;   in Loop: Header=BB16_10 Depth=1
	v_ashrrev_i32_e32 v6, 31, v5
	v_lshlrev_b64 v[6:7], 2, v[5:6]
	v_mov_b32_e32 v8, s11
	v_add_co_u32_e32 v6, vcc, s10, v6
	v_addc_co_u32_e32 v7, vcc, v8, v7, vcc
	global_load_dword v8, v[6:7], off glc
	s_waitcnt vmcnt(0)
	v_cmp_eq_u32_e32 vcc, 0, v8
	s_and_saveexec_b64 s[26:27], vcc
	s_cbranch_execz .LBB16_14
; %bb.12:                               ;   in Loop: Header=BB16_10 Depth=1
	s_mov_b64 s[28:29], 0
.LBB16_13:                              ;   Parent Loop BB16_10 Depth=1
                                        ; =>  This Inner Loop Header: Depth=2
	global_load_dword v8, v[6:7], off glc
	s_waitcnt vmcnt(0)
	v_cmp_ne_u32_e32 vcc, 0, v8
	s_or_b64 s[28:29], vcc, s[28:29]
	s_andn2_b64 exec, exec, s[28:29]
	s_cbranch_execnz .LBB16_13
.LBB16_14:                              ;   in Loop: Header=BB16_10 Depth=1
	s_or_b64 exec, exec, s[26:27]
	buffer_wbinvl1_vol
	s_and_saveexec_b64 s[26:27], s[0:1]
	s_cbranch_execz .LBB16_8
; %bb.15:                               ;   in Loop: Header=BB16_10 Depth=1
	v_mul_lo_u32 v13, v4, s33
	v_mul_lo_u32 v14, v5, s33
	s_mov_b64 s[28:29], 0
	v_mov_b32_e32 v15, v11
	v_mov_b32_e32 v6, v0
	s_branch .LBB16_17
.LBB16_16:                              ;   in Loop: Header=BB16_17 Depth=2
	v_add_u32_e32 v7, v6, v9
	v_ashrrev_i32_e32 v8, 31, v7
	v_lshlrev_b64 v[7:8], 2, v[7:8]
	v_mov_b32_e32 v17, s9
	v_add_co_u32_e32 v7, vcc, s8, v7
	v_addc_co_u32_e32 v8, vcc, v17, v8, vcc
	global_load_dword v17, v[7:8], off
	v_add_u32_e32 v6, 64, v6
	v_cmp_le_i32_e32 vcc, s33, v6
	s_or_b64 s[28:29], vcc, s[28:29]
	v_add_u32_e32 v15, s34, v15
	s_waitcnt vmcnt(0)
	v_sub_f32_e32 v16, v17, v16
	global_store_dword v[7:8], v16, off
	s_andn2_b64 exec, exec, s[28:29]
	s_cbranch_execz .LBB16_8
.LBB16_17:                              ;   Parent Loop BB16_10 Depth=1
                                        ; =>  This Loop Header: Depth=2
                                        ;       Child Loop BB16_19 Depth 3
	v_mov_b32_e32 v16, 0
	s_mov_b32 s3, 0
	s_branch .LBB16_19
.LBB16_18:                              ;   in Loop: Header=BB16_19 Depth=3
	v_ashrrev_i32_e32 v8, 31, v7
	v_lshlrev_b64 v[7:8], 2, v[7:8]
	v_mov_b32_e32 v17, s7
	v_add_co_u32_e32 v7, vcc, s6, v7
	v_addc_co_u32_e32 v8, vcc, v17, v8, vcc
	global_load_dword v17, v[7:8], off
	v_add_u32_e32 v7, s3, v14
	v_ashrrev_i32_e32 v8, 31, v7
	v_lshlrev_b64 v[7:8], 2, v[7:8]
	v_mov_b32_e32 v18, s9
	v_add_co_u32_e32 v7, vcc, s8, v7
	v_addc_co_u32_e32 v8, vcc, v18, v8, vcc
	global_load_dword v7, v[7:8], off
	s_add_i32 s3, s3, 1
	s_cmp_eq_u32 s33, s3
	s_waitcnt vmcnt(0)
	v_fmac_f32_e32 v16, v17, v7
	s_cbranch_scc1 .LBB16_16
.LBB16_19:                              ;   Parent Loop BB16_10 Depth=1
                                        ;     Parent Loop BB16_17 Depth=2
                                        ; =>    This Inner Loop Header: Depth=3
	s_and_b64 vcc, exec, s[12:13]
	s_cbranch_vccz .LBB16_21
; %bb.20:                               ;   in Loop: Header=BB16_19 Depth=3
	v_add_u32_e32 v7, s3, v13
	v_mad_u64_u32 v[7:8], s[30:31], v7, s33, v[6:7]
	s_cbranch_execnz .LBB16_18
	s_branch .LBB16_22
.LBB16_21:                              ;   in Loop: Header=BB16_19 Depth=3
                                        ; implicit-def: $vgpr7
.LBB16_22:                              ;   in Loop: Header=BB16_19 Depth=3
	v_add_u32_e32 v7, s3, v15
	s_branch .LBB16_18
.LBB16_23:
	s_or_b64 exec, exec, s[20:21]
.LBB16_24:
	s_or_b64 exec, exec, s[4:5]
	s_cmp_gt_i32 s33, 0
	v_cmp_eq_u32_e32 vcc, v5, v1
	s_cselect_b64 s[0:1], -1, 0
	s_mov_b32 s22, 0
	s_and_b64 s[4:5], s[0:1], vcc
	s_mov_b64 s[0:1], 0
	s_and_saveexec_b64 s[2:3], s[4:5]
	s_cbranch_execz .LBB16_37
; %bb.25:
	v_mul_lo_u32 v6, v4, s33
	s_cmp_eq_u32 s17, 0
	s_cselect_b64 s[0:1], -1, 0
	s_cmp_lg_u32 s18, 0
	v_add_u32_e32 v4, v6, v0
	v_mul_lo_u32 v4, s33, v4
	v_add_u32_e32 v7, 1, v0
	s_cselect_b64 s[4:5], -1, 0
	s_add_i32 s17, s33, 1
	v_add_u32_e32 v8, s33, v4
	v_cndmask_b32_e64 v4, 0, 1, s[0:1]
	s_lshl_b32 s23, s33, 6
	s_mov_b64 s[18:19], 0
	v_cmp_ne_u32_e64 s[0:1], 1, v4
	v_mov_b32_e32 v10, s9
                                        ; implicit-def: $sgpr12_sgpr13
	s_and_b64 vcc, exec, s[0:1]
	v_mov_b32_e32 v12, 1.0
	s_cbranch_vccnz .LBB16_27
.LBB16_26:
	v_add_u32_e32 v4, s22, v6
	v_mul_lo_u32 v4, v4, s33
	s_waitcnt vmcnt(0)
	v_mov_b32_e32 v11, s7
	v_add_u32_e32 v4, s22, v4
	v_ashrrev_i32_e32 v5, 31, v4
	v_lshlrev_b64 v[4:5], 2, v[4:5]
	v_add_co_u32_e32 v4, vcc, s6, v4
	v_addc_co_u32_e32 v5, vcc, v11, v5, vcc
	global_load_dword v12, v[4:5], off
.LBB16_27:                              ; =>This Loop Header: Depth=1
                                        ;     Child Loop BB16_32 Depth 2
	v_add_u32_e32 v4, s22, v9
	v_ashrrev_i32_e32 v5, 31, v4
	v_lshlrev_b64 v[4:5], 2, v[4:5]
	s_or_b64 s[12:13], s[12:13], exec
	v_add_co_u32_e32 v4, vcc, s8, v4
	v_addc_co_u32_e32 v5, vcc, v10, v5, vcc
	global_load_dword v11, v[4:5], off
	s_waitcnt vmcnt(1)
	v_cmp_neq_f32_e32 vcc, 0, v12
	s_and_saveexec_b64 s[20:21], vcc
	s_cbranch_execz .LBB16_29
; %bb.28:                               ;   in Loop: Header=BB16_27 Depth=1
	s_waitcnt vmcnt(0)
	v_div_scale_f32 v13, s[24:25], v12, v12, v11
	v_div_scale_f32 v14, vcc, v11, v12, v11
	s_andn2_b64 s[12:13], s[12:13], exec
	s_and_b64 s[18:19], s[18:19], exec
	s_or_b64 s[12:13], s[12:13], s[18:19]
	v_rcp_f32_e32 v15, v13
	v_fma_f32 v16, -v13, v15, 1.0
	v_fmac_f32_e32 v15, v16, v15
	v_mul_f32_e32 v16, v14, v15
	v_fma_f32 v17, -v13, v16, v14
	v_fmac_f32_e32 v16, v17, v15
	v_fma_f32 v13, -v13, v16, v14
	v_div_fmas_f32 v13, v13, v15, v16
	v_div_fixup_f32 v11, v13, v12, v11
	global_store_dword v[4:5], v11, off
.LBB16_29:                              ;   in Loop: Header=BB16_27 Depth=1
	s_or_b64 exec, exec, s[20:21]
	v_add_u32_e32 v12, s22, v7
	v_cmp_gt_i32_e32 vcc, s33, v12
	s_and_saveexec_b64 s[18:19], vcc
	s_cbranch_execz .LBB16_34
; %bb.30:                               ;   in Loop: Header=BB16_27 Depth=1
	v_add_u32_e32 v4, s22, v6
	v_mul_lo_u32 v13, v4, s33
	s_mov_b64 s[20:21], 0
	v_mov_b32_e32 v14, v8
	s_branch .LBB16_32
.LBB16_31:                              ;   in Loop: Header=BB16_32 Depth=2
	v_ashrrev_i32_e32 v5, 31, v4
	v_lshlrev_b64 v[4:5], 2, v[4:5]
	v_mov_b32_e32 v15, s7
	v_add_co_u32_e32 v4, vcc, s6, v4
	v_addc_co_u32_e32 v5, vcc, v15, v5, vcc
	global_load_dword v15, v[4:5], off
	v_add_u32_e32 v4, v9, v12
	v_ashrrev_i32_e32 v5, 31, v4
	v_lshlrev_b64 v[4:5], 2, v[4:5]
	v_mov_b32_e32 v16, s9
	v_add_co_u32_e32 v4, vcc, s8, v4
	v_addc_co_u32_e32 v5, vcc, v16, v5, vcc
	global_load_dword v16, v[4:5], off
	v_add_u32_e32 v12, 64, v12
	v_cmp_le_i32_e32 vcc, s33, v12
	s_or_b64 s[20:21], vcc, s[20:21]
	v_add_u32_e32 v14, s23, v14
	s_waitcnt vmcnt(0)
	v_fma_f32 v15, -v11, v15, v16
	global_store_dword v[4:5], v15, off
	s_andn2_b64 exec, exec, s[20:21]
	s_cbranch_execz .LBB16_34
.LBB16_32:                              ;   Parent Loop BB16_27 Depth=1
                                        ; =>  This Inner Loop Header: Depth=2
	s_andn2_b64 vcc, exec, s[4:5]
	v_mov_b32_e32 v4, v14
	s_cbranch_vccnz .LBB16_31
; %bb.33:                               ;   in Loop: Header=BB16_32 Depth=2
	v_add_u32_e32 v4, v12, v13
	s_branch .LBB16_31
.LBB16_34:                              ;   in Loop: Header=BB16_27 Depth=1
	s_or_b64 exec, exec, s[18:19]
	s_add_i32 s22, s22, 1
	s_cmp_eq_u32 s22, s33
	v_add_u32_e32 v8, s17, v8
	s_cbranch_scc1 .LBB16_36
; %bb.35:                               ;   in Loop: Header=BB16_27 Depth=1
	s_mov_b64 s[18:19], s[12:13]
	s_and_b64 vcc, exec, s[0:1]
	v_mov_b32_e32 v12, 1.0
	s_cbranch_vccnz .LBB16_27
	s_branch .LBB16_26
.LBB16_36:
	s_and_b64 s[0:1], s[12:13], exec
.LBB16_37:
	s_or_b64 exec, exec, s[2:3]
	v_cmp_eq_u32_e32 vcc, 0, v0
	s_and_b64 exec, exec, vcc
	s_cbranch_execz .LBB16_43
; %bb.38:
	v_mov_b32_e32 v0, s11
	v_add_co_u32_e32 v2, vcc, s10, v2
	v_addc_co_u32_e32 v3, vcc, v0, v3, vcc
	v_mov_b32_e32 v0, 1
	s_waitcnt vmcnt(0)
	global_store_dword v[2:3], v0, off
	s_and_b64 exec, exec, s[0:1]
	s_cbranch_execz .LBB16_43
; %bb.39:
	s_mov_b64 s[0:1], exec
	v_add_u32_e32 v0, s16, v1
	s_brev_b32 s2, -2
.LBB16_40:                              ; =>This Inner Loop Header: Depth=1
	s_ff1_i32_b64 s3, s[0:1]
	v_readlane_b32 s6, v0, s3
	s_lshl_b64 s[4:5], 1, s3
	s_min_i32 s2, s2, s6
	s_andn2_b64 s[0:1], s[0:1], s[4:5]
	s_cmp_lg_u64 s[0:1], 0
	s_cbranch_scc1 .LBB16_40
; %bb.41:
	v_mbcnt_lo_u32_b32 v0, exec_lo, 0
	v_mbcnt_hi_u32_b32 v0, exec_hi, v0
	v_cmp_eq_u32_e32 vcc, 0, v0
	s_and_saveexec_b64 s[0:1], vcc
	s_xor_b64 s[0:1], exec, s[0:1]
	s_cbranch_execz .LBB16_43
; %bb.42:
	v_mov_b32_e32 v0, 0
	v_mov_b32_e32 v1, s2
	global_atomic_smin v0, v1, s[14:15]
.LBB16_43:
	s_endpgm
	.section	.rodata,"a",@progbits
	.p2align	6, 0x0
	.amdhsa_kernel _ZN9rocsparseL19bsrsv_lower_generalILj128ELj64ELb0EfEEviNS_24const_host_device_scalarIT2_EEPKiS5_PKS2_iS7_PS2_PiS9_S9_21rocsparse_index_base_20rocsparse_diag_type_20rocsparse_direction_b
		.amdhsa_group_segment_fixed_size 0
		.amdhsa_private_segment_fixed_size 0
		.amdhsa_kernarg_size 104
		.amdhsa_user_sgpr_count 6
		.amdhsa_user_sgpr_private_segment_buffer 1
		.amdhsa_user_sgpr_dispatch_ptr 0
		.amdhsa_user_sgpr_queue_ptr 0
		.amdhsa_user_sgpr_kernarg_segment_ptr 1
		.amdhsa_user_sgpr_dispatch_id 0
		.amdhsa_user_sgpr_flat_scratch_init 0
		.amdhsa_user_sgpr_private_segment_size 0
		.amdhsa_uses_dynamic_stack 0
		.amdhsa_system_sgpr_private_segment_wavefront_offset 0
		.amdhsa_system_sgpr_workgroup_id_x 1
		.amdhsa_system_sgpr_workgroup_id_y 0
		.amdhsa_system_sgpr_workgroup_id_z 0
		.amdhsa_system_sgpr_workgroup_info 0
		.amdhsa_system_vgpr_workitem_id 0
		.amdhsa_next_free_vgpr 19
		.amdhsa_next_free_sgpr 35
		.amdhsa_reserve_vcc 1
		.amdhsa_reserve_flat_scratch 0
		.amdhsa_float_round_mode_32 0
		.amdhsa_float_round_mode_16_64 0
		.amdhsa_float_denorm_mode_32 3
		.amdhsa_float_denorm_mode_16_64 3
		.amdhsa_dx10_clamp 1
		.amdhsa_ieee_mode 1
		.amdhsa_fp16_overflow 0
		.amdhsa_exception_fp_ieee_invalid_op 0
		.amdhsa_exception_fp_denorm_src 0
		.amdhsa_exception_fp_ieee_div_zero 0
		.amdhsa_exception_fp_ieee_overflow 0
		.amdhsa_exception_fp_ieee_underflow 0
		.amdhsa_exception_fp_ieee_inexact 0
		.amdhsa_exception_int_div_zero 0
	.end_amdhsa_kernel
	.section	.text._ZN9rocsparseL19bsrsv_lower_generalILj128ELj64ELb0EfEEviNS_24const_host_device_scalarIT2_EEPKiS5_PKS2_iS7_PS2_PiS9_S9_21rocsparse_index_base_20rocsparse_diag_type_20rocsparse_direction_b,"axG",@progbits,_ZN9rocsparseL19bsrsv_lower_generalILj128ELj64ELb0EfEEviNS_24const_host_device_scalarIT2_EEPKiS5_PKS2_iS7_PS2_PiS9_S9_21rocsparse_index_base_20rocsparse_diag_type_20rocsparse_direction_b,comdat
.Lfunc_end16:
	.size	_ZN9rocsparseL19bsrsv_lower_generalILj128ELj64ELb0EfEEviNS_24const_host_device_scalarIT2_EEPKiS5_PKS2_iS7_PS2_PiS9_S9_21rocsparse_index_base_20rocsparse_diag_type_20rocsparse_direction_b, .Lfunc_end16-_ZN9rocsparseL19bsrsv_lower_generalILj128ELj64ELb0EfEEviNS_24const_host_device_scalarIT2_EEPKiS5_PKS2_iS7_PS2_PiS9_S9_21rocsparse_index_base_20rocsparse_diag_type_20rocsparse_direction_b
                                        ; -- End function
	.set _ZN9rocsparseL19bsrsv_lower_generalILj128ELj64ELb0EfEEviNS_24const_host_device_scalarIT2_EEPKiS5_PKS2_iS7_PS2_PiS9_S9_21rocsparse_index_base_20rocsparse_diag_type_20rocsparse_direction_b.num_vgpr, 19
	.set _ZN9rocsparseL19bsrsv_lower_generalILj128ELj64ELb0EfEEviNS_24const_host_device_scalarIT2_EEPKiS5_PKS2_iS7_PS2_PiS9_S9_21rocsparse_index_base_20rocsparse_diag_type_20rocsparse_direction_b.num_agpr, 0
	.set _ZN9rocsparseL19bsrsv_lower_generalILj128ELj64ELb0EfEEviNS_24const_host_device_scalarIT2_EEPKiS5_PKS2_iS7_PS2_PiS9_S9_21rocsparse_index_base_20rocsparse_diag_type_20rocsparse_direction_b.numbered_sgpr, 35
	.set _ZN9rocsparseL19bsrsv_lower_generalILj128ELj64ELb0EfEEviNS_24const_host_device_scalarIT2_EEPKiS5_PKS2_iS7_PS2_PiS9_S9_21rocsparse_index_base_20rocsparse_diag_type_20rocsparse_direction_b.num_named_barrier, 0
	.set _ZN9rocsparseL19bsrsv_lower_generalILj128ELj64ELb0EfEEviNS_24const_host_device_scalarIT2_EEPKiS5_PKS2_iS7_PS2_PiS9_S9_21rocsparse_index_base_20rocsparse_diag_type_20rocsparse_direction_b.private_seg_size, 0
	.set _ZN9rocsparseL19bsrsv_lower_generalILj128ELj64ELb0EfEEviNS_24const_host_device_scalarIT2_EEPKiS5_PKS2_iS7_PS2_PiS9_S9_21rocsparse_index_base_20rocsparse_diag_type_20rocsparse_direction_b.uses_vcc, 1
	.set _ZN9rocsparseL19bsrsv_lower_generalILj128ELj64ELb0EfEEviNS_24const_host_device_scalarIT2_EEPKiS5_PKS2_iS7_PS2_PiS9_S9_21rocsparse_index_base_20rocsparse_diag_type_20rocsparse_direction_b.uses_flat_scratch, 0
	.set _ZN9rocsparseL19bsrsv_lower_generalILj128ELj64ELb0EfEEviNS_24const_host_device_scalarIT2_EEPKiS5_PKS2_iS7_PS2_PiS9_S9_21rocsparse_index_base_20rocsparse_diag_type_20rocsparse_direction_b.has_dyn_sized_stack, 0
	.set _ZN9rocsparseL19bsrsv_lower_generalILj128ELj64ELb0EfEEviNS_24const_host_device_scalarIT2_EEPKiS5_PKS2_iS7_PS2_PiS9_S9_21rocsparse_index_base_20rocsparse_diag_type_20rocsparse_direction_b.has_recursion, 0
	.set _ZN9rocsparseL19bsrsv_lower_generalILj128ELj64ELb0EfEEviNS_24const_host_device_scalarIT2_EEPKiS5_PKS2_iS7_PS2_PiS9_S9_21rocsparse_index_base_20rocsparse_diag_type_20rocsparse_direction_b.has_indirect_call, 0
	.section	.AMDGPU.csdata,"",@progbits
; Kernel info:
; codeLenInByte = 1556
; TotalNumSgprs: 39
; NumVgprs: 19
; ScratchSize: 0
; MemoryBound: 0
; FloatMode: 240
; IeeeMode: 1
; LDSByteSize: 0 bytes/workgroup (compile time only)
; SGPRBlocks: 4
; VGPRBlocks: 4
; NumSGPRsForWavesPerEU: 39
; NumVGPRsForWavesPerEU: 19
; Occupancy: 10
; WaveLimiterHint : 1
; COMPUTE_PGM_RSRC2:SCRATCH_EN: 0
; COMPUTE_PGM_RSRC2:USER_SGPR: 6
; COMPUTE_PGM_RSRC2:TRAP_HANDLER: 0
; COMPUTE_PGM_RSRC2:TGID_X_EN: 1
; COMPUTE_PGM_RSRC2:TGID_Y_EN: 0
; COMPUTE_PGM_RSRC2:TGID_Z_EN: 0
; COMPUTE_PGM_RSRC2:TIDIG_COMP_CNT: 0
	.section	.text._ZN9rocsparseL19bsrsv_upper_generalILj128ELj64ELb1EfEEviNS_24const_host_device_scalarIT2_EEPKiS5_PKS2_iS7_PS2_PiS9_S9_21rocsparse_index_base_20rocsparse_diag_type_20rocsparse_direction_b,"axG",@progbits,_ZN9rocsparseL19bsrsv_upper_generalILj128ELj64ELb1EfEEviNS_24const_host_device_scalarIT2_EEPKiS5_PKS2_iS7_PS2_PiS9_S9_21rocsparse_index_base_20rocsparse_diag_type_20rocsparse_direction_b,comdat
	.globl	_ZN9rocsparseL19bsrsv_upper_generalILj128ELj64ELb1EfEEviNS_24const_host_device_scalarIT2_EEPKiS5_PKS2_iS7_PS2_PiS9_S9_21rocsparse_index_base_20rocsparse_diag_type_20rocsparse_direction_b ; -- Begin function _ZN9rocsparseL19bsrsv_upper_generalILj128ELj64ELb1EfEEviNS_24const_host_device_scalarIT2_EEPKiS5_PKS2_iS7_PS2_PiS9_S9_21rocsparse_index_base_20rocsparse_diag_type_20rocsparse_direction_b
	.p2align	8
	.type	_ZN9rocsparseL19bsrsv_upper_generalILj128ELj64ELb1EfEEviNS_24const_host_device_scalarIT2_EEPKiS5_PKS2_iS7_PS2_PiS9_S9_21rocsparse_index_base_20rocsparse_diag_type_20rocsparse_direction_b,@function
_ZN9rocsparseL19bsrsv_upper_generalILj128ELj64ELb1EfEEviNS_24const_host_device_scalarIT2_EEPKiS5_PKS2_iS7_PS2_PiS9_S9_21rocsparse_index_base_20rocsparse_diag_type_20rocsparse_direction_b: ; @_ZN9rocsparseL19bsrsv_upper_generalILj128ELj64ELb1EfEEviNS_24const_host_device_scalarIT2_EEPKiS5_PKS2_iS7_PS2_PiS9_S9_21rocsparse_index_base_20rocsparse_diag_type_20rocsparse_direction_b
; %bb.0:
	s_load_dwordx4 s[16:19], s[4:5], 0x58
	s_load_dwordx2 s[20:21], s[4:5], 0x8
	s_waitcnt lgkmcnt(0)
	s_bitcmp1_b32 s19, 0
	s_cselect_b64 s[0:1], -1, 0
	s_and_b64 vcc, exec, s[0:1]
	s_cbranch_vccnz .LBB17_2
; %bb.1:
	s_load_dword s20, s[20:21], 0x0
.LBB17_2:
	s_nop 0
	s_load_dword s19, s[4:5], 0x0
	s_lshl_b32 s0, s6, 1
	v_lshrrev_b32_e32 v1, 6, v0
	s_and_b32 s0, s0, 0x3fffffe
	v_or_b32_e32 v1, s0, v1
	s_waitcnt lgkmcnt(0)
	v_cmp_gt_i32_e32 vcc, s19, v1
	s_and_saveexec_b64 s[0:1], vcc
	s_cbranch_execz .LBB17_46
; %bb.3:
	s_load_dwordx8 s[8:15], s[4:5], 0x38
	v_lshlrev_b32_e32 v1, 2, v1
	s_load_dword s33, s[4:5], 0x28
	v_and_b32_e32 v0, 63, v0
	s_waitcnt lgkmcnt(0)
	global_load_dword v1, v1, s[12:13]
	s_load_dwordx4 s[0:3], s[4:5], 0x10
	s_load_dwordx2 s[6:7], s[4:5], 0x20
	s_waitcnt lgkmcnt(0)
	v_mov_b32_e32 v5, s1
	s_waitcnt vmcnt(0)
	v_ashrrev_i32_e32 v2, 31, v1
	v_lshlrev_b64 v[2:3], 2, v[1:2]
	v_add_co_u32_e32 v4, vcc, s0, v2
	v_addc_co_u32_e32 v5, vcc, v5, v3, vcc
	global_load_dwordx2 v[4:5], v[4:5], off
	v_cmp_gt_i32_e64 s[0:1], s33, v0
	s_and_saveexec_b64 s[12:13], s[0:1]
	s_cbranch_execz .LBB17_6
; %bb.4:
	v_mad_u64_u32 v[6:7], s[22:23], v1, s33, v[0:1]
	s_load_dwordx2 s[4:5], s[4:5], 0x30
	v_mov_b32_e32 v10, s9
	v_ashrrev_i32_e32 v7, 31, v6
	v_lshlrev_b64 v[8:9], 2, v[6:7]
	s_waitcnt lgkmcnt(0)
	v_mov_b32_e32 v7, s5
	v_add_co_u32_e32 v6, vcc, s4, v8
	v_addc_co_u32_e32 v7, vcc, v7, v9, vcc
	v_add_co_u32_e32 v8, vcc, s8, v8
	v_addc_co_u32_e32 v9, vcc, v10, v9, vcc
	s_mov_b64 s[4:5], 0
	v_mov_b32_e32 v10, v0
.LBB17_5:                               ; =>This Inner Loop Header: Depth=1
	global_load_dword v11, v[6:7], off
	v_add_co_u32_e32 v6, vcc, 0x100, v6
	v_add_u32_e32 v10, 64, v10
	v_addc_co_u32_e32 v7, vcc, 0, v7, vcc
	v_cmp_le_i32_e32 vcc, s33, v10
	s_or_b64 s[4:5], vcc, s[4:5]
	s_waitcnt vmcnt(0)
	v_mul_f32_e32 v11, s20, v11
	global_store_dword v[8:9], v11, off
	v_add_co_u32_e32 v8, vcc, 0x100, v8
	v_addc_co_u32_e32 v9, vcc, 0, v9, vcc
	s_andn2_b64 exec, exec, s[4:5]
	s_cbranch_execnz .LBB17_5
.LBB17_6:
	s_or_b64 exec, exec, s[12:13]
	v_mul_lo_u32 v9, v1, s33
	s_waitcnt vmcnt(0)
	v_subrev_u32_e32 v10, s16, v4
	v_xad_u32 v4, s16, -1, v5
	v_cmp_ge_i32_e32 vcc, v4, v10
	v_mov_b32_e32 v5, s19
	s_and_saveexec_b64 s[4:5], vcc
	s_cbranch_execz .LBB17_26
; %bb.7:
	v_mad_u64_u32 v[5:6], s[12:13], s33, v4, v[0:1]
	s_cmp_lg_u32 s18, 0
	s_cselect_b64 s[12:13], -1, 0
	v_mul_lo_u32 v11, s33, v5
	s_mul_i32 s19, s33, s33
	s_lshl_b32 s34, s33, 6
	s_mov_b64 s[20:21], 0
	v_mov_b32_e32 v12, s3
                                        ; implicit-def: $sgpr22_sgpr23
	s_branch .LBB17_10
.LBB17_8:                               ;   in Loop: Header=BB17_10 Depth=1
	s_or_b64 exec, exec, s[26:27]
	v_cmp_le_i32_e32 vcc, v4, v10
	v_add_u32_e32 v6, -1, v4
	s_andn2_b64 s[22:23], s[22:23], exec
	s_and_b64 s[26:27], vcc, exec
	v_subrev_u32_e32 v11, s19, v11
	s_or_b64 s[22:23], s[22:23], s[26:27]
	v_mov_b32_e32 v4, v6
.LBB17_9:                               ;   in Loop: Header=BB17_10 Depth=1
	s_or_b64 exec, exec, s[24:25]
	s_and_b64 s[24:25], exec, s[22:23]
	s_or_b64 s[20:21], s[24:25], s[20:21]
	s_andn2_b64 exec, exec, s[20:21]
	s_cbranch_execz .LBB17_25
.LBB17_10:                              ; =>This Loop Header: Depth=1
                                        ;     Child Loop BB17_14 Depth 2
                                        ;       Child Loop BB17_15 Depth 3
                                        ;     Child Loop BB17_19 Depth 2
                                        ;       Child Loop BB17_21 Depth 3
	v_ashrrev_i32_e32 v5, 31, v4
	v_lshlrev_b64 v[5:6], 2, v[4:5]
	s_or_b64 s[22:23], s[22:23], exec
	v_add_co_u32_e32 v5, vcc, s2, v5
	v_addc_co_u32_e32 v6, vcc, v12, v6, vcc
	global_load_dword v5, v[5:6], off
	s_waitcnt vmcnt(0)
	v_subrev_u32_e32 v5, s16, v5
	v_cmp_gt_i32_e32 vcc, v5, v1
	s_and_saveexec_b64 s[24:25], vcc
	s_cbranch_execz .LBB17_9
; %bb.11:                               ;   in Loop: Header=BB17_10 Depth=1
	v_ashrrev_i32_e32 v6, 31, v5
	v_lshlrev_b64 v[6:7], 2, v[5:6]
	v_mov_b32_e32 v8, s11
	v_add_co_u32_e32 v6, vcc, s10, v6
	v_addc_co_u32_e32 v7, vcc, v8, v7, vcc
	global_load_dword v8, v[6:7], off glc
	s_waitcnt vmcnt(0)
	v_cmp_eq_u32_e32 vcc, 0, v8
	s_and_saveexec_b64 s[26:27], vcc
	s_cbranch_execz .LBB17_16
; %bb.12:                               ;   in Loop: Header=BB17_10 Depth=1
	s_mov_b32 s3, 0
	s_mov_b64 s[28:29], 0
	s_branch .LBB17_14
.LBB17_13:                              ;   in Loop: Header=BB17_14 Depth=2
	global_load_dword v8, v[6:7], off glc
	s_cmpk_lt_u32 s3, 0xf43
	s_cselect_b64 s[30:31], -1, 0
	s_cmp_lg_u64 s[30:31], 0
	s_addc_u32 s3, s3, 0
	s_waitcnt vmcnt(0)
	v_cmp_ne_u32_e32 vcc, 0, v8
	s_or_b64 s[28:29], vcc, s[28:29]
	s_andn2_b64 exec, exec, s[28:29]
	s_cbranch_execz .LBB17_16
.LBB17_14:                              ;   Parent Loop BB17_10 Depth=1
                                        ; =>  This Loop Header: Depth=2
                                        ;       Child Loop BB17_15 Depth 3
	s_cmp_eq_u32 s3, 0
	s_mov_b32 s30, s3
	s_cbranch_scc1 .LBB17_13
.LBB17_15:                              ;   Parent Loop BB17_10 Depth=1
                                        ;     Parent Loop BB17_14 Depth=2
                                        ; =>    This Inner Loop Header: Depth=3
	s_add_i32 s30, s30, -1
	s_cmp_eq_u32 s30, 0
	s_sleep 1
	s_cbranch_scc0 .LBB17_15
	s_branch .LBB17_13
.LBB17_16:                              ;   in Loop: Header=BB17_10 Depth=1
	s_or_b64 exec, exec, s[26:27]
	buffer_wbinvl1_vol
	s_and_saveexec_b64 s[26:27], s[0:1]
	s_cbranch_execz .LBB17_8
; %bb.17:                               ;   in Loop: Header=BB17_10 Depth=1
	v_mul_lo_u32 v13, v4, s33
	v_mul_lo_u32 v14, v5, s33
	s_mov_b64 s[28:29], 0
	v_mov_b32_e32 v15, v11
	v_mov_b32_e32 v6, v0
	s_branch .LBB17_19
.LBB17_18:                              ;   in Loop: Header=BB17_19 Depth=2
	v_add_u32_e32 v7, v6, v9
	v_ashrrev_i32_e32 v8, 31, v7
	v_lshlrev_b64 v[7:8], 2, v[7:8]
	v_mov_b32_e32 v17, s9
	v_add_co_u32_e32 v7, vcc, s8, v7
	v_addc_co_u32_e32 v8, vcc, v17, v8, vcc
	global_load_dword v17, v[7:8], off
	v_add_u32_e32 v6, 64, v6
	v_cmp_le_i32_e32 vcc, s33, v6
	s_or_b64 s[28:29], vcc, s[28:29]
	v_add_u32_e32 v15, s34, v15
	s_waitcnt vmcnt(0)
	v_sub_f32_e32 v16, v17, v16
	global_store_dword v[7:8], v16, off
	s_andn2_b64 exec, exec, s[28:29]
	s_cbranch_execz .LBB17_8
.LBB17_19:                              ;   Parent Loop BB17_10 Depth=1
                                        ; =>  This Loop Header: Depth=2
                                        ;       Child Loop BB17_21 Depth 3
	v_mov_b32_e32 v16, 0
	s_mov_b32 s3, 0
	s_branch .LBB17_21
.LBB17_20:                              ;   in Loop: Header=BB17_21 Depth=3
	v_ashrrev_i32_e32 v8, 31, v7
	v_lshlrev_b64 v[7:8], 2, v[7:8]
	v_mov_b32_e32 v17, s7
	v_add_co_u32_e32 v7, vcc, s6, v7
	v_addc_co_u32_e32 v8, vcc, v17, v8, vcc
	global_load_dword v17, v[7:8], off
	v_add_u32_e32 v7, s3, v14
	v_ashrrev_i32_e32 v8, 31, v7
	v_lshlrev_b64 v[7:8], 2, v[7:8]
	v_mov_b32_e32 v18, s9
	v_add_co_u32_e32 v7, vcc, s8, v7
	v_addc_co_u32_e32 v8, vcc, v18, v8, vcc
	global_load_dword v7, v[7:8], off
	s_add_i32 s3, s3, 1
	s_cmp_eq_u32 s33, s3
	s_waitcnt vmcnt(0)
	v_fmac_f32_e32 v16, v17, v7
	s_cbranch_scc1 .LBB17_18
.LBB17_21:                              ;   Parent Loop BB17_10 Depth=1
                                        ;     Parent Loop BB17_19 Depth=2
                                        ; =>    This Inner Loop Header: Depth=3
	s_and_b64 vcc, exec, s[12:13]
	s_cbranch_vccz .LBB17_23
; %bb.22:                               ;   in Loop: Header=BB17_21 Depth=3
	v_add_u32_e32 v7, s3, v13
	v_mad_u64_u32 v[7:8], s[30:31], v7, s33, v[6:7]
	s_cbranch_execnz .LBB17_20
	s_branch .LBB17_24
.LBB17_23:                              ;   in Loop: Header=BB17_21 Depth=3
                                        ; implicit-def: $vgpr7
.LBB17_24:                              ;   in Loop: Header=BB17_21 Depth=3
	v_add_u32_e32 v7, s3, v15
	s_branch .LBB17_20
.LBB17_25:
	s_or_b64 exec, exec, s[20:21]
.LBB17_26:
	s_or_b64 exec, exec, s[4:5]
	s_cmp_gt_i32 s33, 0
	v_cmp_eq_u32_e32 vcc, v5, v1
	s_cselect_b64 s[0:1], -1, 0
	s_and_b64 s[4:5], s[0:1], vcc
	s_mov_b64 s[0:1], 0
	s_and_saveexec_b64 s[2:3], s[4:5]
	s_cbranch_execz .LBB17_40
; %bb.27:
	v_mul_lo_u32 v6, v4, s33
	s_cmp_eq_u32 s17, 0
	s_cselect_b64 s[0:1], -1, 0
	s_cmp_lg_u32 s18, 0
	v_add_u32_e32 v4, v6, v0
	v_mul_lo_u32 v4, s33, v4
	v_ashrrev_i32_e32 v7, 31, v9
	s_cselect_b64 s[4:5], -1, 0
	s_lshl_b32 s17, s33, 6
	v_add3_u32 v8, v4, s33, -1
	v_cndmask_b32_e64 v4, 0, 1, s[0:1]
	s_mov_b64 s[18:19], 0
	v_cmp_ne_u32_e64 s[0:1], 1, v4
	v_mov_b32_e32 v10, s9
                                        ; implicit-def: $sgpr12_sgpr13
	s_mov_b32 s22, s33
	s_add_i32 s23, s22, -1
	s_and_b64 vcc, exec, s[0:1]
	v_mov_b32_e32 v12, 1.0
	s_cbranch_vccnz .LBB17_29
.LBB17_28:
	v_add_u32_e32 v4, s23, v6
	v_mul_lo_u32 v4, v4, s33
	s_waitcnt vmcnt(0)
	v_mov_b32_e32 v11, s7
	v_add_u32_e32 v4, s23, v4
	v_ashrrev_i32_e32 v5, 31, v4
	v_lshlrev_b64 v[4:5], 2, v[4:5]
	v_add_co_u32_e32 v4, vcc, s6, v4
	v_addc_co_u32_e32 v5, vcc, v11, v5, vcc
	global_load_dword v12, v[4:5], off
.LBB17_29:                              ; =>This Loop Header: Depth=1
                                        ;     Child Loop BB17_34 Depth 2
	s_ashr_i32 s20, s22, 31
	v_mov_b32_e32 v5, s20
	v_add_co_u32_e32 v4, vcc, s22, v9
	v_addc_co_u32_e32 v5, vcc, v5, v7, vcc
	v_lshlrev_b64 v[4:5], 2, v[4:5]
	s_or_b64 s[12:13], s[12:13], exec
	v_add_co_u32_e32 v4, vcc, s8, v4
	v_addc_co_u32_e32 v5, vcc, v10, v5, vcc
	global_load_dword v11, v[4:5], off offset:-4
	s_waitcnt vmcnt(1)
	v_cmp_neq_f32_e32 vcc, 0, v12
	s_and_saveexec_b64 s[20:21], vcc
	s_cbranch_execz .LBB17_31
; %bb.30:                               ;   in Loop: Header=BB17_29 Depth=1
	s_waitcnt vmcnt(0)
	v_div_scale_f32 v13, s[24:25], v12, v12, v11
	v_div_scale_f32 v14, vcc, v11, v12, v11
	s_andn2_b64 s[12:13], s[12:13], exec
	s_and_b64 s[18:19], s[18:19], exec
	s_or_b64 s[12:13], s[12:13], s[18:19]
	v_rcp_f32_e32 v15, v13
	v_fma_f32 v16, -v13, v15, 1.0
	v_fmac_f32_e32 v15, v16, v15
	v_mul_f32_e32 v16, v14, v15
	v_fma_f32 v17, -v13, v16, v14
	v_fmac_f32_e32 v16, v17, v15
	v_fma_f32 v13, -v13, v16, v14
	v_div_fmas_f32 v13, v13, v15, v16
	v_div_fixup_f32 v11, v13, v12, v11
	global_store_dword v[4:5], v11, off offset:-4
.LBB17_31:                              ;   in Loop: Header=BB17_29 Depth=1
	s_or_b64 exec, exec, s[20:21]
	v_cmp_gt_i32_e32 vcc, s23, v0
	s_and_saveexec_b64 s[18:19], vcc
	s_cbranch_execz .LBB17_36
; %bb.32:                               ;   in Loop: Header=BB17_29 Depth=1
	v_add_u32_e32 v4, s23, v6
	v_mul_lo_u32 v12, v4, s33
	s_mov_b64 s[20:21], 0
	v_mov_b32_e32 v13, v8
	v_mov_b32_e32 v14, v0
	s_branch .LBB17_34
.LBB17_33:                              ;   in Loop: Header=BB17_34 Depth=2
	v_ashrrev_i32_e32 v5, 31, v4
	v_lshlrev_b64 v[4:5], 2, v[4:5]
	v_mov_b32_e32 v15, s7
	v_add_co_u32_e32 v4, vcc, s6, v4
	v_addc_co_u32_e32 v5, vcc, v15, v5, vcc
	global_load_dword v15, v[4:5], off
	v_add_u32_e32 v4, v9, v14
	v_ashrrev_i32_e32 v5, 31, v4
	v_lshlrev_b64 v[4:5], 2, v[4:5]
	v_mov_b32_e32 v16, s9
	v_add_co_u32_e32 v4, vcc, s8, v4
	v_addc_co_u32_e32 v5, vcc, v16, v5, vcc
	global_load_dword v16, v[4:5], off
	v_add_u32_e32 v14, 64, v14
	v_cmp_le_i32_e32 vcc, s23, v14
	s_or_b64 s[20:21], vcc, s[20:21]
	v_add_u32_e32 v13, s17, v13
	s_waitcnt vmcnt(0)
	v_fma_f32 v15, -v11, v15, v16
	global_store_dword v[4:5], v15, off
	s_andn2_b64 exec, exec, s[20:21]
	s_cbranch_execz .LBB17_36
.LBB17_34:                              ;   Parent Loop BB17_29 Depth=1
                                        ; =>  This Inner Loop Header: Depth=2
	s_andn2_b64 vcc, exec, s[4:5]
	v_mov_b32_e32 v4, v13
	s_cbranch_vccnz .LBB17_33
; %bb.35:                               ;   in Loop: Header=BB17_34 Depth=2
	v_add_u32_e32 v4, v14, v12
	s_branch .LBB17_33
.LBB17_36:                              ;   in Loop: Header=BB17_29 Depth=1
	s_or_b64 exec, exec, s[18:19]
; %bb.37:                               ;   in Loop: Header=BB17_29 Depth=1
	s_cmp_lt_i32 s22, 2
	v_add_u32_e32 v8, -1, v8
	s_cbranch_scc1 .LBB17_39
; %bb.38:                               ;   in Loop: Header=BB17_29 Depth=1
	s_mov_b64 s[18:19], s[12:13]
	s_mov_b32 s22, s23
	s_add_i32 s23, s22, -1
	s_and_b64 vcc, exec, s[0:1]
	v_mov_b32_e32 v12, 1.0
	s_cbranch_vccnz .LBB17_29
	s_branch .LBB17_28
.LBB17_39:
	s_and_b64 s[0:1], s[12:13], exec
.LBB17_40:
	s_or_b64 exec, exec, s[2:3]
	v_cmp_eq_u32_e32 vcc, 0, v0
	s_and_b64 exec, exec, vcc
	s_cbranch_execz .LBB17_46
; %bb.41:
	v_mov_b32_e32 v0, s11
	v_add_co_u32_e32 v2, vcc, s10, v2
	v_addc_co_u32_e32 v3, vcc, v0, v3, vcc
	v_mov_b32_e32 v0, 1
	s_waitcnt vmcnt(0)
	global_store_dword v[2:3], v0, off
	s_and_b64 exec, exec, s[0:1]
	s_cbranch_execz .LBB17_46
; %bb.42:
	s_mov_b64 s[0:1], exec
	v_add_u32_e32 v0, s16, v1
	s_brev_b32 s2, -2
.LBB17_43:                              ; =>This Inner Loop Header: Depth=1
	s_ff1_i32_b64 s3, s[0:1]
	v_readlane_b32 s6, v0, s3
	s_lshl_b64 s[4:5], 1, s3
	s_min_i32 s2, s2, s6
	s_andn2_b64 s[0:1], s[0:1], s[4:5]
	s_cmp_lg_u64 s[0:1], 0
	s_cbranch_scc1 .LBB17_43
; %bb.44:
	v_mbcnt_lo_u32_b32 v0, exec_lo, 0
	v_mbcnt_hi_u32_b32 v0, exec_hi, v0
	v_cmp_eq_u32_e32 vcc, 0, v0
	s_and_saveexec_b64 s[0:1], vcc
	s_xor_b64 s[0:1], exec, s[0:1]
	s_cbranch_execz .LBB17_46
; %bb.45:
	v_mov_b32_e32 v0, 0
	v_mov_b32_e32 v1, s2
	global_atomic_smin v0, v1, s[14:15]
.LBB17_46:
	s_endpgm
	.section	.rodata,"a",@progbits
	.p2align	6, 0x0
	.amdhsa_kernel _ZN9rocsparseL19bsrsv_upper_generalILj128ELj64ELb1EfEEviNS_24const_host_device_scalarIT2_EEPKiS5_PKS2_iS7_PS2_PiS9_S9_21rocsparse_index_base_20rocsparse_diag_type_20rocsparse_direction_b
		.amdhsa_group_segment_fixed_size 0
		.amdhsa_private_segment_fixed_size 0
		.amdhsa_kernarg_size 104
		.amdhsa_user_sgpr_count 6
		.amdhsa_user_sgpr_private_segment_buffer 1
		.amdhsa_user_sgpr_dispatch_ptr 0
		.amdhsa_user_sgpr_queue_ptr 0
		.amdhsa_user_sgpr_kernarg_segment_ptr 1
		.amdhsa_user_sgpr_dispatch_id 0
		.amdhsa_user_sgpr_flat_scratch_init 0
		.amdhsa_user_sgpr_private_segment_size 0
		.amdhsa_uses_dynamic_stack 0
		.amdhsa_system_sgpr_private_segment_wavefront_offset 0
		.amdhsa_system_sgpr_workgroup_id_x 1
		.amdhsa_system_sgpr_workgroup_id_y 0
		.amdhsa_system_sgpr_workgroup_id_z 0
		.amdhsa_system_sgpr_workgroup_info 0
		.amdhsa_system_vgpr_workitem_id 0
		.amdhsa_next_free_vgpr 19
		.amdhsa_next_free_sgpr 35
		.amdhsa_reserve_vcc 1
		.amdhsa_reserve_flat_scratch 0
		.amdhsa_float_round_mode_32 0
		.amdhsa_float_round_mode_16_64 0
		.amdhsa_float_denorm_mode_32 3
		.amdhsa_float_denorm_mode_16_64 3
		.amdhsa_dx10_clamp 1
		.amdhsa_ieee_mode 1
		.amdhsa_fp16_overflow 0
		.amdhsa_exception_fp_ieee_invalid_op 0
		.amdhsa_exception_fp_denorm_src 0
		.amdhsa_exception_fp_ieee_div_zero 0
		.amdhsa_exception_fp_ieee_overflow 0
		.amdhsa_exception_fp_ieee_underflow 0
		.amdhsa_exception_fp_ieee_inexact 0
		.amdhsa_exception_int_div_zero 0
	.end_amdhsa_kernel
	.section	.text._ZN9rocsparseL19bsrsv_upper_generalILj128ELj64ELb1EfEEviNS_24const_host_device_scalarIT2_EEPKiS5_PKS2_iS7_PS2_PiS9_S9_21rocsparse_index_base_20rocsparse_diag_type_20rocsparse_direction_b,"axG",@progbits,_ZN9rocsparseL19bsrsv_upper_generalILj128ELj64ELb1EfEEviNS_24const_host_device_scalarIT2_EEPKiS5_PKS2_iS7_PS2_PiS9_S9_21rocsparse_index_base_20rocsparse_diag_type_20rocsparse_direction_b,comdat
.Lfunc_end17:
	.size	_ZN9rocsparseL19bsrsv_upper_generalILj128ELj64ELb1EfEEviNS_24const_host_device_scalarIT2_EEPKiS5_PKS2_iS7_PS2_PiS9_S9_21rocsparse_index_base_20rocsparse_diag_type_20rocsparse_direction_b, .Lfunc_end17-_ZN9rocsparseL19bsrsv_upper_generalILj128ELj64ELb1EfEEviNS_24const_host_device_scalarIT2_EEPKiS5_PKS2_iS7_PS2_PiS9_S9_21rocsparse_index_base_20rocsparse_diag_type_20rocsparse_direction_b
                                        ; -- End function
	.set _ZN9rocsparseL19bsrsv_upper_generalILj128ELj64ELb1EfEEviNS_24const_host_device_scalarIT2_EEPKiS5_PKS2_iS7_PS2_PiS9_S9_21rocsparse_index_base_20rocsparse_diag_type_20rocsparse_direction_b.num_vgpr, 19
	.set _ZN9rocsparseL19bsrsv_upper_generalILj128ELj64ELb1EfEEviNS_24const_host_device_scalarIT2_EEPKiS5_PKS2_iS7_PS2_PiS9_S9_21rocsparse_index_base_20rocsparse_diag_type_20rocsparse_direction_b.num_agpr, 0
	.set _ZN9rocsparseL19bsrsv_upper_generalILj128ELj64ELb1EfEEviNS_24const_host_device_scalarIT2_EEPKiS5_PKS2_iS7_PS2_PiS9_S9_21rocsparse_index_base_20rocsparse_diag_type_20rocsparse_direction_b.numbered_sgpr, 35
	.set _ZN9rocsparseL19bsrsv_upper_generalILj128ELj64ELb1EfEEviNS_24const_host_device_scalarIT2_EEPKiS5_PKS2_iS7_PS2_PiS9_S9_21rocsparse_index_base_20rocsparse_diag_type_20rocsparse_direction_b.num_named_barrier, 0
	.set _ZN9rocsparseL19bsrsv_upper_generalILj128ELj64ELb1EfEEviNS_24const_host_device_scalarIT2_EEPKiS5_PKS2_iS7_PS2_PiS9_S9_21rocsparse_index_base_20rocsparse_diag_type_20rocsparse_direction_b.private_seg_size, 0
	.set _ZN9rocsparseL19bsrsv_upper_generalILj128ELj64ELb1EfEEviNS_24const_host_device_scalarIT2_EEPKiS5_PKS2_iS7_PS2_PiS9_S9_21rocsparse_index_base_20rocsparse_diag_type_20rocsparse_direction_b.uses_vcc, 1
	.set _ZN9rocsparseL19bsrsv_upper_generalILj128ELj64ELb1EfEEviNS_24const_host_device_scalarIT2_EEPKiS5_PKS2_iS7_PS2_PiS9_S9_21rocsparse_index_base_20rocsparse_diag_type_20rocsparse_direction_b.uses_flat_scratch, 0
	.set _ZN9rocsparseL19bsrsv_upper_generalILj128ELj64ELb1EfEEviNS_24const_host_device_scalarIT2_EEPKiS5_PKS2_iS7_PS2_PiS9_S9_21rocsparse_index_base_20rocsparse_diag_type_20rocsparse_direction_b.has_dyn_sized_stack, 0
	.set _ZN9rocsparseL19bsrsv_upper_generalILj128ELj64ELb1EfEEviNS_24const_host_device_scalarIT2_EEPKiS5_PKS2_iS7_PS2_PiS9_S9_21rocsparse_index_base_20rocsparse_diag_type_20rocsparse_direction_b.has_recursion, 0
	.set _ZN9rocsparseL19bsrsv_upper_generalILj128ELj64ELb1EfEEviNS_24const_host_device_scalarIT2_EEPKiS5_PKS2_iS7_PS2_PiS9_S9_21rocsparse_index_base_20rocsparse_diag_type_20rocsparse_direction_b.has_indirect_call, 0
	.section	.AMDGPU.csdata,"",@progbits
; Kernel info:
; codeLenInByte = 1636
; TotalNumSgprs: 39
; NumVgprs: 19
; ScratchSize: 0
; MemoryBound: 0
; FloatMode: 240
; IeeeMode: 1
; LDSByteSize: 0 bytes/workgroup (compile time only)
; SGPRBlocks: 4
; VGPRBlocks: 4
; NumSGPRsForWavesPerEU: 39
; NumVGPRsForWavesPerEU: 19
; Occupancy: 10
; WaveLimiterHint : 1
; COMPUTE_PGM_RSRC2:SCRATCH_EN: 0
; COMPUTE_PGM_RSRC2:USER_SGPR: 6
; COMPUTE_PGM_RSRC2:TRAP_HANDLER: 0
; COMPUTE_PGM_RSRC2:TGID_X_EN: 1
; COMPUTE_PGM_RSRC2:TGID_Y_EN: 0
; COMPUTE_PGM_RSRC2:TGID_Z_EN: 0
; COMPUTE_PGM_RSRC2:TIDIG_COMP_CNT: 0
	.section	.text._ZN9rocsparseL19bsrsv_upper_generalILj128ELj64ELb0EfEEviNS_24const_host_device_scalarIT2_EEPKiS5_PKS2_iS7_PS2_PiS9_S9_21rocsparse_index_base_20rocsparse_diag_type_20rocsparse_direction_b,"axG",@progbits,_ZN9rocsparseL19bsrsv_upper_generalILj128ELj64ELb0EfEEviNS_24const_host_device_scalarIT2_EEPKiS5_PKS2_iS7_PS2_PiS9_S9_21rocsparse_index_base_20rocsparse_diag_type_20rocsparse_direction_b,comdat
	.globl	_ZN9rocsparseL19bsrsv_upper_generalILj128ELj64ELb0EfEEviNS_24const_host_device_scalarIT2_EEPKiS5_PKS2_iS7_PS2_PiS9_S9_21rocsparse_index_base_20rocsparse_diag_type_20rocsparse_direction_b ; -- Begin function _ZN9rocsparseL19bsrsv_upper_generalILj128ELj64ELb0EfEEviNS_24const_host_device_scalarIT2_EEPKiS5_PKS2_iS7_PS2_PiS9_S9_21rocsparse_index_base_20rocsparse_diag_type_20rocsparse_direction_b
	.p2align	8
	.type	_ZN9rocsparseL19bsrsv_upper_generalILj128ELj64ELb0EfEEviNS_24const_host_device_scalarIT2_EEPKiS5_PKS2_iS7_PS2_PiS9_S9_21rocsparse_index_base_20rocsparse_diag_type_20rocsparse_direction_b,@function
_ZN9rocsparseL19bsrsv_upper_generalILj128ELj64ELb0EfEEviNS_24const_host_device_scalarIT2_EEPKiS5_PKS2_iS7_PS2_PiS9_S9_21rocsparse_index_base_20rocsparse_diag_type_20rocsparse_direction_b: ; @_ZN9rocsparseL19bsrsv_upper_generalILj128ELj64ELb0EfEEviNS_24const_host_device_scalarIT2_EEPKiS5_PKS2_iS7_PS2_PiS9_S9_21rocsparse_index_base_20rocsparse_diag_type_20rocsparse_direction_b
; %bb.0:
	s_load_dwordx4 s[16:19], s[4:5], 0x58
	s_load_dwordx2 s[20:21], s[4:5], 0x8
	s_waitcnt lgkmcnt(0)
	s_bitcmp1_b32 s19, 0
	s_cselect_b64 s[0:1], -1, 0
	s_and_b64 vcc, exec, s[0:1]
	s_cbranch_vccnz .LBB18_2
; %bb.1:
	s_load_dword s20, s[20:21], 0x0
.LBB18_2:
	s_nop 0
	s_load_dword s19, s[4:5], 0x0
	s_lshl_b32 s0, s6, 1
	v_lshrrev_b32_e32 v1, 6, v0
	s_and_b32 s0, s0, 0x3fffffe
	v_or_b32_e32 v1, s0, v1
	s_waitcnt lgkmcnt(0)
	v_cmp_gt_i32_e32 vcc, s19, v1
	s_and_saveexec_b64 s[0:1], vcc
	s_cbranch_execz .LBB18_44
; %bb.3:
	s_load_dwordx8 s[8:15], s[4:5], 0x38
	v_lshlrev_b32_e32 v1, 2, v1
	s_load_dword s33, s[4:5], 0x28
	v_and_b32_e32 v0, 63, v0
	s_waitcnt lgkmcnt(0)
	global_load_dword v1, v1, s[12:13]
	s_load_dwordx4 s[0:3], s[4:5], 0x10
	s_load_dwordx2 s[6:7], s[4:5], 0x20
	s_waitcnt lgkmcnt(0)
	v_mov_b32_e32 v5, s1
	s_waitcnt vmcnt(0)
	v_ashrrev_i32_e32 v2, 31, v1
	v_lshlrev_b64 v[2:3], 2, v[1:2]
	v_add_co_u32_e32 v4, vcc, s0, v2
	v_addc_co_u32_e32 v5, vcc, v5, v3, vcc
	global_load_dwordx2 v[4:5], v[4:5], off
	v_cmp_gt_i32_e64 s[0:1], s33, v0
	s_and_saveexec_b64 s[12:13], s[0:1]
	s_cbranch_execz .LBB18_6
; %bb.4:
	v_mad_u64_u32 v[6:7], s[22:23], v1, s33, v[0:1]
	s_load_dwordx2 s[4:5], s[4:5], 0x30
	v_mov_b32_e32 v10, s9
	v_ashrrev_i32_e32 v7, 31, v6
	v_lshlrev_b64 v[8:9], 2, v[6:7]
	s_waitcnt lgkmcnt(0)
	v_mov_b32_e32 v7, s5
	v_add_co_u32_e32 v6, vcc, s4, v8
	v_addc_co_u32_e32 v7, vcc, v7, v9, vcc
	v_add_co_u32_e32 v8, vcc, s8, v8
	v_addc_co_u32_e32 v9, vcc, v10, v9, vcc
	s_mov_b64 s[4:5], 0
	v_mov_b32_e32 v10, v0
.LBB18_5:                               ; =>This Inner Loop Header: Depth=1
	global_load_dword v11, v[6:7], off
	v_add_co_u32_e32 v6, vcc, 0x100, v6
	v_add_u32_e32 v10, 64, v10
	v_addc_co_u32_e32 v7, vcc, 0, v7, vcc
	v_cmp_le_i32_e32 vcc, s33, v10
	s_or_b64 s[4:5], vcc, s[4:5]
	s_waitcnt vmcnt(0)
	v_mul_f32_e32 v11, s20, v11
	global_store_dword v[8:9], v11, off
	v_add_co_u32_e32 v8, vcc, 0x100, v8
	v_addc_co_u32_e32 v9, vcc, 0, v9, vcc
	s_andn2_b64 exec, exec, s[4:5]
	s_cbranch_execnz .LBB18_5
.LBB18_6:
	s_or_b64 exec, exec, s[12:13]
	v_mul_lo_u32 v9, v1, s33
	s_waitcnt vmcnt(0)
	v_subrev_u32_e32 v10, s16, v4
	v_xad_u32 v4, s16, -1, v5
	v_cmp_ge_i32_e32 vcc, v4, v10
	v_mov_b32_e32 v5, s19
	s_and_saveexec_b64 s[4:5], vcc
	s_cbranch_execz .LBB18_24
; %bb.7:
	v_mad_u64_u32 v[5:6], s[12:13], s33, v4, v[0:1]
	s_cmp_lg_u32 s18, 0
	s_cselect_b64 s[12:13], -1, 0
	v_mul_lo_u32 v11, s33, v5
	s_mul_i32 s19, s33, s33
	s_lshl_b32 s34, s33, 6
	s_mov_b64 s[20:21], 0
	v_mov_b32_e32 v12, s3
                                        ; implicit-def: $sgpr22_sgpr23
	s_branch .LBB18_10
.LBB18_8:                               ;   in Loop: Header=BB18_10 Depth=1
	s_or_b64 exec, exec, s[26:27]
	v_cmp_le_i32_e32 vcc, v4, v10
	v_add_u32_e32 v6, -1, v4
	s_andn2_b64 s[22:23], s[22:23], exec
	s_and_b64 s[26:27], vcc, exec
	v_subrev_u32_e32 v11, s19, v11
	s_or_b64 s[22:23], s[22:23], s[26:27]
	v_mov_b32_e32 v4, v6
.LBB18_9:                               ;   in Loop: Header=BB18_10 Depth=1
	s_or_b64 exec, exec, s[24:25]
	s_and_b64 s[24:25], exec, s[22:23]
	s_or_b64 s[20:21], s[24:25], s[20:21]
	s_andn2_b64 exec, exec, s[20:21]
	s_cbranch_execz .LBB18_23
.LBB18_10:                              ; =>This Loop Header: Depth=1
                                        ;     Child Loop BB18_13 Depth 2
                                        ;     Child Loop BB18_17 Depth 2
                                        ;       Child Loop BB18_19 Depth 3
	v_ashrrev_i32_e32 v5, 31, v4
	v_lshlrev_b64 v[5:6], 2, v[4:5]
	s_or_b64 s[22:23], s[22:23], exec
	v_add_co_u32_e32 v5, vcc, s2, v5
	v_addc_co_u32_e32 v6, vcc, v12, v6, vcc
	global_load_dword v5, v[5:6], off
	s_waitcnt vmcnt(0)
	v_subrev_u32_e32 v5, s16, v5
	v_cmp_gt_i32_e32 vcc, v5, v1
	s_and_saveexec_b64 s[24:25], vcc
	s_cbranch_execz .LBB18_9
; %bb.11:                               ;   in Loop: Header=BB18_10 Depth=1
	v_ashrrev_i32_e32 v6, 31, v5
	v_lshlrev_b64 v[6:7], 2, v[5:6]
	v_mov_b32_e32 v8, s11
	v_add_co_u32_e32 v6, vcc, s10, v6
	v_addc_co_u32_e32 v7, vcc, v8, v7, vcc
	global_load_dword v8, v[6:7], off glc
	s_waitcnt vmcnt(0)
	v_cmp_eq_u32_e32 vcc, 0, v8
	s_and_saveexec_b64 s[26:27], vcc
	s_cbranch_execz .LBB18_14
; %bb.12:                               ;   in Loop: Header=BB18_10 Depth=1
	s_mov_b64 s[28:29], 0
.LBB18_13:                              ;   Parent Loop BB18_10 Depth=1
                                        ; =>  This Inner Loop Header: Depth=2
	global_load_dword v8, v[6:7], off glc
	s_waitcnt vmcnt(0)
	v_cmp_ne_u32_e32 vcc, 0, v8
	s_or_b64 s[28:29], vcc, s[28:29]
	s_andn2_b64 exec, exec, s[28:29]
	s_cbranch_execnz .LBB18_13
.LBB18_14:                              ;   in Loop: Header=BB18_10 Depth=1
	s_or_b64 exec, exec, s[26:27]
	buffer_wbinvl1_vol
	s_and_saveexec_b64 s[26:27], s[0:1]
	s_cbranch_execz .LBB18_8
; %bb.15:                               ;   in Loop: Header=BB18_10 Depth=1
	v_mul_lo_u32 v13, v4, s33
	v_mul_lo_u32 v14, v5, s33
	s_mov_b64 s[28:29], 0
	v_mov_b32_e32 v15, v11
	v_mov_b32_e32 v6, v0
	s_branch .LBB18_17
.LBB18_16:                              ;   in Loop: Header=BB18_17 Depth=2
	v_add_u32_e32 v7, v6, v9
	v_ashrrev_i32_e32 v8, 31, v7
	v_lshlrev_b64 v[7:8], 2, v[7:8]
	v_mov_b32_e32 v17, s9
	v_add_co_u32_e32 v7, vcc, s8, v7
	v_addc_co_u32_e32 v8, vcc, v17, v8, vcc
	global_load_dword v17, v[7:8], off
	v_add_u32_e32 v6, 64, v6
	v_cmp_le_i32_e32 vcc, s33, v6
	s_or_b64 s[28:29], vcc, s[28:29]
	v_add_u32_e32 v15, s34, v15
	s_waitcnt vmcnt(0)
	v_sub_f32_e32 v16, v17, v16
	global_store_dword v[7:8], v16, off
	s_andn2_b64 exec, exec, s[28:29]
	s_cbranch_execz .LBB18_8
.LBB18_17:                              ;   Parent Loop BB18_10 Depth=1
                                        ; =>  This Loop Header: Depth=2
                                        ;       Child Loop BB18_19 Depth 3
	v_mov_b32_e32 v16, 0
	s_mov_b32 s3, 0
	s_branch .LBB18_19
.LBB18_18:                              ;   in Loop: Header=BB18_19 Depth=3
	v_ashrrev_i32_e32 v8, 31, v7
	v_lshlrev_b64 v[7:8], 2, v[7:8]
	v_mov_b32_e32 v17, s7
	v_add_co_u32_e32 v7, vcc, s6, v7
	v_addc_co_u32_e32 v8, vcc, v17, v8, vcc
	global_load_dword v17, v[7:8], off
	v_add_u32_e32 v7, s3, v14
	v_ashrrev_i32_e32 v8, 31, v7
	v_lshlrev_b64 v[7:8], 2, v[7:8]
	v_mov_b32_e32 v18, s9
	v_add_co_u32_e32 v7, vcc, s8, v7
	v_addc_co_u32_e32 v8, vcc, v18, v8, vcc
	global_load_dword v7, v[7:8], off
	s_add_i32 s3, s3, 1
	s_cmp_eq_u32 s33, s3
	s_waitcnt vmcnt(0)
	v_fmac_f32_e32 v16, v17, v7
	s_cbranch_scc1 .LBB18_16
.LBB18_19:                              ;   Parent Loop BB18_10 Depth=1
                                        ;     Parent Loop BB18_17 Depth=2
                                        ; =>    This Inner Loop Header: Depth=3
	s_and_b64 vcc, exec, s[12:13]
	s_cbranch_vccz .LBB18_21
; %bb.20:                               ;   in Loop: Header=BB18_19 Depth=3
	v_add_u32_e32 v7, s3, v13
	v_mad_u64_u32 v[7:8], s[30:31], v7, s33, v[6:7]
	s_cbranch_execnz .LBB18_18
	s_branch .LBB18_22
.LBB18_21:                              ;   in Loop: Header=BB18_19 Depth=3
                                        ; implicit-def: $vgpr7
.LBB18_22:                              ;   in Loop: Header=BB18_19 Depth=3
	v_add_u32_e32 v7, s3, v15
	s_branch .LBB18_18
.LBB18_23:
	s_or_b64 exec, exec, s[20:21]
.LBB18_24:
	s_or_b64 exec, exec, s[4:5]
	s_cmp_gt_i32 s33, 0
	v_cmp_eq_u32_e32 vcc, v5, v1
	s_cselect_b64 s[0:1], -1, 0
	s_and_b64 s[4:5], s[0:1], vcc
	s_mov_b64 s[0:1], 0
	s_and_saveexec_b64 s[2:3], s[4:5]
	s_cbranch_execz .LBB18_38
; %bb.25:
	v_mul_lo_u32 v6, v4, s33
	s_cmp_eq_u32 s17, 0
	s_cselect_b64 s[0:1], -1, 0
	s_cmp_lg_u32 s18, 0
	v_add_u32_e32 v4, v6, v0
	v_mul_lo_u32 v4, s33, v4
	v_ashrrev_i32_e32 v7, 31, v9
	s_cselect_b64 s[4:5], -1, 0
	s_lshl_b32 s17, s33, 6
	v_add3_u32 v8, v4, s33, -1
	v_cndmask_b32_e64 v4, 0, 1, s[0:1]
	s_mov_b64 s[18:19], 0
	v_cmp_ne_u32_e64 s[0:1], 1, v4
	v_mov_b32_e32 v10, s9
                                        ; implicit-def: $sgpr12_sgpr13
	s_mov_b32 s22, s33
	s_add_i32 s23, s22, -1
	s_and_b64 vcc, exec, s[0:1]
	v_mov_b32_e32 v12, 1.0
	s_cbranch_vccnz .LBB18_27
.LBB18_26:
	v_add_u32_e32 v4, s23, v6
	v_mul_lo_u32 v4, v4, s33
	s_waitcnt vmcnt(0)
	v_mov_b32_e32 v11, s7
	v_add_u32_e32 v4, s23, v4
	v_ashrrev_i32_e32 v5, 31, v4
	v_lshlrev_b64 v[4:5], 2, v[4:5]
	v_add_co_u32_e32 v4, vcc, s6, v4
	v_addc_co_u32_e32 v5, vcc, v11, v5, vcc
	global_load_dword v12, v[4:5], off
.LBB18_27:                              ; =>This Loop Header: Depth=1
                                        ;     Child Loop BB18_32 Depth 2
	s_ashr_i32 s20, s22, 31
	v_mov_b32_e32 v5, s20
	v_add_co_u32_e32 v4, vcc, s22, v9
	v_addc_co_u32_e32 v5, vcc, v5, v7, vcc
	v_lshlrev_b64 v[4:5], 2, v[4:5]
	s_or_b64 s[12:13], s[12:13], exec
	v_add_co_u32_e32 v4, vcc, s8, v4
	v_addc_co_u32_e32 v5, vcc, v10, v5, vcc
	global_load_dword v11, v[4:5], off offset:-4
	s_waitcnt vmcnt(1)
	v_cmp_neq_f32_e32 vcc, 0, v12
	s_and_saveexec_b64 s[20:21], vcc
	s_cbranch_execz .LBB18_29
; %bb.28:                               ;   in Loop: Header=BB18_27 Depth=1
	s_waitcnt vmcnt(0)
	v_div_scale_f32 v13, s[24:25], v12, v12, v11
	v_div_scale_f32 v14, vcc, v11, v12, v11
	s_andn2_b64 s[12:13], s[12:13], exec
	s_and_b64 s[18:19], s[18:19], exec
	s_or_b64 s[12:13], s[12:13], s[18:19]
	v_rcp_f32_e32 v15, v13
	v_fma_f32 v16, -v13, v15, 1.0
	v_fmac_f32_e32 v15, v16, v15
	v_mul_f32_e32 v16, v14, v15
	v_fma_f32 v17, -v13, v16, v14
	v_fmac_f32_e32 v16, v17, v15
	v_fma_f32 v13, -v13, v16, v14
	v_div_fmas_f32 v13, v13, v15, v16
	v_div_fixup_f32 v11, v13, v12, v11
	global_store_dword v[4:5], v11, off offset:-4
.LBB18_29:                              ;   in Loop: Header=BB18_27 Depth=1
	s_or_b64 exec, exec, s[20:21]
	v_cmp_gt_i32_e32 vcc, s23, v0
	s_and_saveexec_b64 s[18:19], vcc
	s_cbranch_execz .LBB18_34
; %bb.30:                               ;   in Loop: Header=BB18_27 Depth=1
	v_add_u32_e32 v4, s23, v6
	v_mul_lo_u32 v12, v4, s33
	s_mov_b64 s[20:21], 0
	v_mov_b32_e32 v13, v8
	v_mov_b32_e32 v14, v0
	s_branch .LBB18_32
.LBB18_31:                              ;   in Loop: Header=BB18_32 Depth=2
	v_ashrrev_i32_e32 v5, 31, v4
	v_lshlrev_b64 v[4:5], 2, v[4:5]
	v_mov_b32_e32 v15, s7
	v_add_co_u32_e32 v4, vcc, s6, v4
	v_addc_co_u32_e32 v5, vcc, v15, v5, vcc
	global_load_dword v15, v[4:5], off
	v_add_u32_e32 v4, v9, v14
	v_ashrrev_i32_e32 v5, 31, v4
	v_lshlrev_b64 v[4:5], 2, v[4:5]
	v_mov_b32_e32 v16, s9
	v_add_co_u32_e32 v4, vcc, s8, v4
	v_addc_co_u32_e32 v5, vcc, v16, v5, vcc
	global_load_dword v16, v[4:5], off
	v_add_u32_e32 v14, 64, v14
	v_cmp_le_i32_e32 vcc, s23, v14
	s_or_b64 s[20:21], vcc, s[20:21]
	v_add_u32_e32 v13, s17, v13
	s_waitcnt vmcnt(0)
	v_fma_f32 v15, -v11, v15, v16
	global_store_dword v[4:5], v15, off
	s_andn2_b64 exec, exec, s[20:21]
	s_cbranch_execz .LBB18_34
.LBB18_32:                              ;   Parent Loop BB18_27 Depth=1
                                        ; =>  This Inner Loop Header: Depth=2
	s_andn2_b64 vcc, exec, s[4:5]
	v_mov_b32_e32 v4, v13
	s_cbranch_vccnz .LBB18_31
; %bb.33:                               ;   in Loop: Header=BB18_32 Depth=2
	v_add_u32_e32 v4, v14, v12
	s_branch .LBB18_31
.LBB18_34:                              ;   in Loop: Header=BB18_27 Depth=1
	s_or_b64 exec, exec, s[18:19]
; %bb.35:                               ;   in Loop: Header=BB18_27 Depth=1
	s_cmp_lt_i32 s22, 2
	v_add_u32_e32 v8, -1, v8
	s_cbranch_scc1 .LBB18_37
; %bb.36:                               ;   in Loop: Header=BB18_27 Depth=1
	s_mov_b64 s[18:19], s[12:13]
	s_mov_b32 s22, s23
	s_add_i32 s23, s22, -1
	s_and_b64 vcc, exec, s[0:1]
	v_mov_b32_e32 v12, 1.0
	s_cbranch_vccnz .LBB18_27
	s_branch .LBB18_26
.LBB18_37:
	s_and_b64 s[0:1], s[12:13], exec
.LBB18_38:
	s_or_b64 exec, exec, s[2:3]
	v_cmp_eq_u32_e32 vcc, 0, v0
	s_and_b64 exec, exec, vcc
	s_cbranch_execz .LBB18_44
; %bb.39:
	v_mov_b32_e32 v0, s11
	v_add_co_u32_e32 v2, vcc, s10, v2
	v_addc_co_u32_e32 v3, vcc, v0, v3, vcc
	v_mov_b32_e32 v0, 1
	s_waitcnt vmcnt(0)
	global_store_dword v[2:3], v0, off
	s_and_b64 exec, exec, s[0:1]
	s_cbranch_execz .LBB18_44
; %bb.40:
	s_mov_b64 s[0:1], exec
	v_add_u32_e32 v0, s16, v1
	s_brev_b32 s2, -2
.LBB18_41:                              ; =>This Inner Loop Header: Depth=1
	s_ff1_i32_b64 s3, s[0:1]
	v_readlane_b32 s6, v0, s3
	s_lshl_b64 s[4:5], 1, s3
	s_min_i32 s2, s2, s6
	s_andn2_b64 s[0:1], s[0:1], s[4:5]
	s_cmp_lg_u64 s[0:1], 0
	s_cbranch_scc1 .LBB18_41
; %bb.42:
	v_mbcnt_lo_u32_b32 v0, exec_lo, 0
	v_mbcnt_hi_u32_b32 v0, exec_hi, v0
	v_cmp_eq_u32_e32 vcc, 0, v0
	s_and_saveexec_b64 s[0:1], vcc
	s_xor_b64 s[0:1], exec, s[0:1]
	s_cbranch_execz .LBB18_44
; %bb.43:
	v_mov_b32_e32 v0, 0
	v_mov_b32_e32 v1, s2
	global_atomic_smin v0, v1, s[14:15]
.LBB18_44:
	s_endpgm
	.section	.rodata,"a",@progbits
	.p2align	6, 0x0
	.amdhsa_kernel _ZN9rocsparseL19bsrsv_upper_generalILj128ELj64ELb0EfEEviNS_24const_host_device_scalarIT2_EEPKiS5_PKS2_iS7_PS2_PiS9_S9_21rocsparse_index_base_20rocsparse_diag_type_20rocsparse_direction_b
		.amdhsa_group_segment_fixed_size 0
		.amdhsa_private_segment_fixed_size 0
		.amdhsa_kernarg_size 104
		.amdhsa_user_sgpr_count 6
		.amdhsa_user_sgpr_private_segment_buffer 1
		.amdhsa_user_sgpr_dispatch_ptr 0
		.amdhsa_user_sgpr_queue_ptr 0
		.amdhsa_user_sgpr_kernarg_segment_ptr 1
		.amdhsa_user_sgpr_dispatch_id 0
		.amdhsa_user_sgpr_flat_scratch_init 0
		.amdhsa_user_sgpr_private_segment_size 0
		.amdhsa_uses_dynamic_stack 0
		.amdhsa_system_sgpr_private_segment_wavefront_offset 0
		.amdhsa_system_sgpr_workgroup_id_x 1
		.amdhsa_system_sgpr_workgroup_id_y 0
		.amdhsa_system_sgpr_workgroup_id_z 0
		.amdhsa_system_sgpr_workgroup_info 0
		.amdhsa_system_vgpr_workitem_id 0
		.amdhsa_next_free_vgpr 19
		.amdhsa_next_free_sgpr 35
		.amdhsa_reserve_vcc 1
		.amdhsa_reserve_flat_scratch 0
		.amdhsa_float_round_mode_32 0
		.amdhsa_float_round_mode_16_64 0
		.amdhsa_float_denorm_mode_32 3
		.amdhsa_float_denorm_mode_16_64 3
		.amdhsa_dx10_clamp 1
		.amdhsa_ieee_mode 1
		.amdhsa_fp16_overflow 0
		.amdhsa_exception_fp_ieee_invalid_op 0
		.amdhsa_exception_fp_denorm_src 0
		.amdhsa_exception_fp_ieee_div_zero 0
		.amdhsa_exception_fp_ieee_overflow 0
		.amdhsa_exception_fp_ieee_underflow 0
		.amdhsa_exception_fp_ieee_inexact 0
		.amdhsa_exception_int_div_zero 0
	.end_amdhsa_kernel
	.section	.text._ZN9rocsparseL19bsrsv_upper_generalILj128ELj64ELb0EfEEviNS_24const_host_device_scalarIT2_EEPKiS5_PKS2_iS7_PS2_PiS9_S9_21rocsparse_index_base_20rocsparse_diag_type_20rocsparse_direction_b,"axG",@progbits,_ZN9rocsparseL19bsrsv_upper_generalILj128ELj64ELb0EfEEviNS_24const_host_device_scalarIT2_EEPKiS5_PKS2_iS7_PS2_PiS9_S9_21rocsparse_index_base_20rocsparse_diag_type_20rocsparse_direction_b,comdat
.Lfunc_end18:
	.size	_ZN9rocsparseL19bsrsv_upper_generalILj128ELj64ELb0EfEEviNS_24const_host_device_scalarIT2_EEPKiS5_PKS2_iS7_PS2_PiS9_S9_21rocsparse_index_base_20rocsparse_diag_type_20rocsparse_direction_b, .Lfunc_end18-_ZN9rocsparseL19bsrsv_upper_generalILj128ELj64ELb0EfEEviNS_24const_host_device_scalarIT2_EEPKiS5_PKS2_iS7_PS2_PiS9_S9_21rocsparse_index_base_20rocsparse_diag_type_20rocsparse_direction_b
                                        ; -- End function
	.set _ZN9rocsparseL19bsrsv_upper_generalILj128ELj64ELb0EfEEviNS_24const_host_device_scalarIT2_EEPKiS5_PKS2_iS7_PS2_PiS9_S9_21rocsparse_index_base_20rocsparse_diag_type_20rocsparse_direction_b.num_vgpr, 19
	.set _ZN9rocsparseL19bsrsv_upper_generalILj128ELj64ELb0EfEEviNS_24const_host_device_scalarIT2_EEPKiS5_PKS2_iS7_PS2_PiS9_S9_21rocsparse_index_base_20rocsparse_diag_type_20rocsparse_direction_b.num_agpr, 0
	.set _ZN9rocsparseL19bsrsv_upper_generalILj128ELj64ELb0EfEEviNS_24const_host_device_scalarIT2_EEPKiS5_PKS2_iS7_PS2_PiS9_S9_21rocsparse_index_base_20rocsparse_diag_type_20rocsparse_direction_b.numbered_sgpr, 35
	.set _ZN9rocsparseL19bsrsv_upper_generalILj128ELj64ELb0EfEEviNS_24const_host_device_scalarIT2_EEPKiS5_PKS2_iS7_PS2_PiS9_S9_21rocsparse_index_base_20rocsparse_diag_type_20rocsparse_direction_b.num_named_barrier, 0
	.set _ZN9rocsparseL19bsrsv_upper_generalILj128ELj64ELb0EfEEviNS_24const_host_device_scalarIT2_EEPKiS5_PKS2_iS7_PS2_PiS9_S9_21rocsparse_index_base_20rocsparse_diag_type_20rocsparse_direction_b.private_seg_size, 0
	.set _ZN9rocsparseL19bsrsv_upper_generalILj128ELj64ELb0EfEEviNS_24const_host_device_scalarIT2_EEPKiS5_PKS2_iS7_PS2_PiS9_S9_21rocsparse_index_base_20rocsparse_diag_type_20rocsparse_direction_b.uses_vcc, 1
	.set _ZN9rocsparseL19bsrsv_upper_generalILj128ELj64ELb0EfEEviNS_24const_host_device_scalarIT2_EEPKiS5_PKS2_iS7_PS2_PiS9_S9_21rocsparse_index_base_20rocsparse_diag_type_20rocsparse_direction_b.uses_flat_scratch, 0
	.set _ZN9rocsparseL19bsrsv_upper_generalILj128ELj64ELb0EfEEviNS_24const_host_device_scalarIT2_EEPKiS5_PKS2_iS7_PS2_PiS9_S9_21rocsparse_index_base_20rocsparse_diag_type_20rocsparse_direction_b.has_dyn_sized_stack, 0
	.set _ZN9rocsparseL19bsrsv_upper_generalILj128ELj64ELb0EfEEviNS_24const_host_device_scalarIT2_EEPKiS5_PKS2_iS7_PS2_PiS9_S9_21rocsparse_index_base_20rocsparse_diag_type_20rocsparse_direction_b.has_recursion, 0
	.set _ZN9rocsparseL19bsrsv_upper_generalILj128ELj64ELb0EfEEviNS_24const_host_device_scalarIT2_EEPKiS5_PKS2_iS7_PS2_PiS9_S9_21rocsparse_index_base_20rocsparse_diag_type_20rocsparse_direction_b.has_indirect_call, 0
	.section	.AMDGPU.csdata,"",@progbits
; Kernel info:
; codeLenInByte = 1580
; TotalNumSgprs: 39
; NumVgprs: 19
; ScratchSize: 0
; MemoryBound: 0
; FloatMode: 240
; IeeeMode: 1
; LDSByteSize: 0 bytes/workgroup (compile time only)
; SGPRBlocks: 4
; VGPRBlocks: 4
; NumSGPRsForWavesPerEU: 39
; NumVGPRsForWavesPerEU: 19
; Occupancy: 10
; WaveLimiterHint : 1
; COMPUTE_PGM_RSRC2:SCRATCH_EN: 0
; COMPUTE_PGM_RSRC2:USER_SGPR: 6
; COMPUTE_PGM_RSRC2:TRAP_HANDLER: 0
; COMPUTE_PGM_RSRC2:TGID_X_EN: 1
; COMPUTE_PGM_RSRC2:TGID_Y_EN: 0
; COMPUTE_PGM_RSRC2:TGID_Z_EN: 0
; COMPUTE_PGM_RSRC2:TIDIG_COMP_CNT: 0
	.section	.text._ZN9rocsparseL19bsrsv_lower_generalILj128ELj32ELb1EfEEviNS_24const_host_device_scalarIT2_EEPKiS5_PKS2_iS7_PS2_PiS9_S9_21rocsparse_index_base_20rocsparse_diag_type_20rocsparse_direction_b,"axG",@progbits,_ZN9rocsparseL19bsrsv_lower_generalILj128ELj32ELb1EfEEviNS_24const_host_device_scalarIT2_EEPKiS5_PKS2_iS7_PS2_PiS9_S9_21rocsparse_index_base_20rocsparse_diag_type_20rocsparse_direction_b,comdat
	.globl	_ZN9rocsparseL19bsrsv_lower_generalILj128ELj32ELb1EfEEviNS_24const_host_device_scalarIT2_EEPKiS5_PKS2_iS7_PS2_PiS9_S9_21rocsparse_index_base_20rocsparse_diag_type_20rocsparse_direction_b ; -- Begin function _ZN9rocsparseL19bsrsv_lower_generalILj128ELj32ELb1EfEEviNS_24const_host_device_scalarIT2_EEPKiS5_PKS2_iS7_PS2_PiS9_S9_21rocsparse_index_base_20rocsparse_diag_type_20rocsparse_direction_b
	.p2align	8
	.type	_ZN9rocsparseL19bsrsv_lower_generalILj128ELj32ELb1EfEEviNS_24const_host_device_scalarIT2_EEPKiS5_PKS2_iS7_PS2_PiS9_S9_21rocsparse_index_base_20rocsparse_diag_type_20rocsparse_direction_b,@function
_ZN9rocsparseL19bsrsv_lower_generalILj128ELj32ELb1EfEEviNS_24const_host_device_scalarIT2_EEPKiS5_PKS2_iS7_PS2_PiS9_S9_21rocsparse_index_base_20rocsparse_diag_type_20rocsparse_direction_b: ; @_ZN9rocsparseL19bsrsv_lower_generalILj128ELj32ELb1EfEEviNS_24const_host_device_scalarIT2_EEPKiS5_PKS2_iS7_PS2_PiS9_S9_21rocsparse_index_base_20rocsparse_diag_type_20rocsparse_direction_b
; %bb.0:
	s_load_dwordx4 s[16:19], s[4:5], 0x58
	s_load_dwordx2 s[20:21], s[4:5], 0x8
	s_waitcnt lgkmcnt(0)
	s_bitcmp1_b32 s19, 0
	s_cselect_b64 s[0:1], -1, 0
	s_and_b64 vcc, exec, s[0:1]
	s_cbranch_vccnz .LBB19_2
; %bb.1:
	s_load_dword s20, s[20:21], 0x0
.LBB19_2:
	s_nop 0
	s_load_dword s19, s[4:5], 0x0
	s_lshl_b32 s0, s6, 2
	v_lshrrev_b32_e32 v1, 5, v0
	s_and_b32 s0, s0, 0x7fffffc
	v_or_b32_e32 v1, s0, v1
	s_waitcnt lgkmcnt(0)
	v_cmp_gt_i32_e32 vcc, s19, v1
	s_and_saveexec_b64 s[0:1], vcc
	s_cbranch_execz .LBB19_45
; %bb.3:
	s_load_dwordx8 s[8:15], s[4:5], 0x38
	v_lshlrev_b32_e32 v1, 2, v1
	s_load_dword s33, s[4:5], 0x28
	v_and_b32_e32 v0, 31, v0
	s_waitcnt lgkmcnt(0)
	global_load_dword v1, v1, s[12:13]
	s_load_dwordx4 s[0:3], s[4:5], 0x10
	s_load_dwordx2 s[6:7], s[4:5], 0x20
	s_waitcnt lgkmcnt(0)
	v_mov_b32_e32 v5, s1
	s_waitcnt vmcnt(0)
	v_ashrrev_i32_e32 v2, 31, v1
	v_lshlrev_b64 v[2:3], 2, v[1:2]
	v_add_co_u32_e32 v4, vcc, s0, v2
	v_addc_co_u32_e32 v5, vcc, v5, v3, vcc
	global_load_dwordx2 v[5:6], v[4:5], off
	v_cmp_gt_i32_e64 s[0:1], s33, v0
	s_and_saveexec_b64 s[12:13], s[0:1]
	s_cbranch_execz .LBB19_6
; %bb.4:
	v_mad_u64_u32 v[7:8], s[22:23], v1, s33, v[0:1]
	s_load_dwordx2 s[4:5], s[4:5], 0x30
	v_ashrrev_i32_e32 v8, 31, v7
	v_lshlrev_b64 v[9:10], 2, v[7:8]
	s_waitcnt lgkmcnt(0)
	v_mov_b32_e32 v4, s5
	v_add_co_u32_e32 v7, vcc, s4, v9
	v_addc_co_u32_e32 v8, vcc, v4, v10, vcc
	v_mov_b32_e32 v4, s9
	v_add_co_u32_e32 v9, vcc, s8, v9
	v_addc_co_u32_e32 v10, vcc, v4, v10, vcc
	s_mov_b64 s[4:5], 0
	v_mov_b32_e32 v4, v0
.LBB19_5:                               ; =>This Inner Loop Header: Depth=1
	global_load_dword v11, v[7:8], off
	v_add_co_u32_e32 v7, vcc, 0x80, v7
	v_add_u32_e32 v4, 32, v4
	v_addc_co_u32_e32 v8, vcc, 0, v8, vcc
	v_cmp_le_i32_e32 vcc, s33, v4
	s_or_b64 s[4:5], vcc, s[4:5]
	s_waitcnt vmcnt(0)
	v_mul_f32_e32 v11, s20, v11
	global_store_dword v[9:10], v11, off
	v_add_co_u32_e32 v9, vcc, 0x80, v9
	v_addc_co_u32_e32 v10, vcc, 0, v10, vcc
	s_andn2_b64 exec, exec, s[4:5]
	s_cbranch_execnz .LBB19_5
.LBB19_6:
	s_or_b64 exec, exec, s[12:13]
	v_mul_lo_u32 v9, v1, s33
	s_waitcnt vmcnt(0)
	v_subrev_u32_e32 v4, s16, v5
	v_cmp_lt_i32_e32 vcc, v5, v6
	v_mov_b32_e32 v5, s19
	s_and_saveexec_b64 s[4:5], vcc
	s_cbranch_execz .LBB19_26
; %bb.7:
	v_mad_u64_u32 v[7:8], s[12:13], s33, v4, v[0:1]
	s_cmp_lg_u32 s18, 0
	v_subrev_u32_e32 v10, s16, v6
	v_mul_lo_u32 v11, s33, v7
	s_cselect_b64 s[12:13], -1, 0
	s_mul_i32 s19, s33, s33
	s_lshl_b32 s34, s33, 5
	s_mov_b64 s[20:21], 0
	v_mov_b32_e32 v12, s3
                                        ; implicit-def: $sgpr22_sgpr23
	s_branch .LBB19_10
.LBB19_8:                               ;   in Loop: Header=BB19_10 Depth=1
	s_or_b64 exec, exec, s[26:27]
	v_add_u32_e32 v4, 1, v4
	v_cmp_ge_i32_e32 vcc, v4, v10
	s_andn2_b64 s[22:23], s[22:23], exec
	s_and_b64 s[26:27], vcc, exec
	v_add_u32_e32 v11, s19, v11
	s_or_b64 s[22:23], s[22:23], s[26:27]
.LBB19_9:                               ;   in Loop: Header=BB19_10 Depth=1
	s_or_b64 exec, exec, s[24:25]
	s_and_b64 s[24:25], exec, s[22:23]
	s_or_b64 s[20:21], s[24:25], s[20:21]
	s_andn2_b64 exec, exec, s[20:21]
	s_cbranch_execz .LBB19_25
.LBB19_10:                              ; =>This Loop Header: Depth=1
                                        ;     Child Loop BB19_14 Depth 2
                                        ;       Child Loop BB19_15 Depth 3
                                        ;     Child Loop BB19_19 Depth 2
                                        ;       Child Loop BB19_21 Depth 3
	v_ashrrev_i32_e32 v5, 31, v4
	v_lshlrev_b64 v[5:6], 2, v[4:5]
	s_or_b64 s[22:23], s[22:23], exec
	v_add_co_u32_e32 v5, vcc, s2, v5
	v_addc_co_u32_e32 v6, vcc, v12, v6, vcc
	global_load_dword v5, v[5:6], off
	s_waitcnt vmcnt(0)
	v_subrev_u32_e32 v5, s16, v5
	v_cmp_lt_i32_e32 vcc, v5, v1
	s_and_saveexec_b64 s[24:25], vcc
	s_cbranch_execz .LBB19_9
; %bb.11:                               ;   in Loop: Header=BB19_10 Depth=1
	v_ashrrev_i32_e32 v6, 31, v5
	v_lshlrev_b64 v[6:7], 2, v[5:6]
	v_mov_b32_e32 v8, s11
	v_add_co_u32_e32 v6, vcc, s10, v6
	v_addc_co_u32_e32 v7, vcc, v8, v7, vcc
	global_load_dword v8, v[6:7], off glc
	s_waitcnt vmcnt(0)
	v_cmp_eq_u32_e32 vcc, 0, v8
	s_and_saveexec_b64 s[26:27], vcc
	s_cbranch_execz .LBB19_16
; %bb.12:                               ;   in Loop: Header=BB19_10 Depth=1
	s_mov_b32 s3, 0
	s_mov_b64 s[28:29], 0
	s_branch .LBB19_14
.LBB19_13:                              ;   in Loop: Header=BB19_14 Depth=2
	global_load_dword v8, v[6:7], off glc
	s_cmpk_lt_u32 s3, 0xf43
	s_cselect_b64 s[30:31], -1, 0
	s_cmp_lg_u64 s[30:31], 0
	s_addc_u32 s3, s3, 0
	s_waitcnt vmcnt(0)
	v_cmp_ne_u32_e32 vcc, 0, v8
	s_or_b64 s[28:29], vcc, s[28:29]
	s_andn2_b64 exec, exec, s[28:29]
	s_cbranch_execz .LBB19_16
.LBB19_14:                              ;   Parent Loop BB19_10 Depth=1
                                        ; =>  This Loop Header: Depth=2
                                        ;       Child Loop BB19_15 Depth 3
	s_cmp_eq_u32 s3, 0
	s_mov_b32 s30, s3
	s_cbranch_scc1 .LBB19_13
.LBB19_15:                              ;   Parent Loop BB19_10 Depth=1
                                        ;     Parent Loop BB19_14 Depth=2
                                        ; =>    This Inner Loop Header: Depth=3
	s_add_i32 s30, s30, -1
	s_cmp_eq_u32 s30, 0
	s_sleep 1
	s_cbranch_scc0 .LBB19_15
	s_branch .LBB19_13
.LBB19_16:                              ;   in Loop: Header=BB19_10 Depth=1
	s_or_b64 exec, exec, s[26:27]
	buffer_wbinvl1_vol
	s_and_saveexec_b64 s[26:27], s[0:1]
	s_cbranch_execz .LBB19_8
; %bb.17:                               ;   in Loop: Header=BB19_10 Depth=1
	v_mul_lo_u32 v13, v4, s33
	v_mul_lo_u32 v14, v5, s33
	s_mov_b64 s[28:29], 0
	v_mov_b32_e32 v15, v11
	v_mov_b32_e32 v6, v0
	s_branch .LBB19_19
.LBB19_18:                              ;   in Loop: Header=BB19_19 Depth=2
	v_add_u32_e32 v7, v6, v9
	v_ashrrev_i32_e32 v8, 31, v7
	v_lshlrev_b64 v[7:8], 2, v[7:8]
	v_mov_b32_e32 v17, s9
	v_add_co_u32_e32 v7, vcc, s8, v7
	v_addc_co_u32_e32 v8, vcc, v17, v8, vcc
	global_load_dword v17, v[7:8], off
	v_add_u32_e32 v6, 32, v6
	v_cmp_le_i32_e32 vcc, s33, v6
	s_or_b64 s[28:29], vcc, s[28:29]
	v_add_u32_e32 v15, s34, v15
	s_waitcnt vmcnt(0)
	v_sub_f32_e32 v16, v17, v16
	global_store_dword v[7:8], v16, off
	s_andn2_b64 exec, exec, s[28:29]
	s_cbranch_execz .LBB19_8
.LBB19_19:                              ;   Parent Loop BB19_10 Depth=1
                                        ; =>  This Loop Header: Depth=2
                                        ;       Child Loop BB19_21 Depth 3
	v_mov_b32_e32 v16, 0
	s_mov_b32 s3, 0
	s_branch .LBB19_21
.LBB19_20:                              ;   in Loop: Header=BB19_21 Depth=3
	v_ashrrev_i32_e32 v8, 31, v7
	v_lshlrev_b64 v[7:8], 2, v[7:8]
	v_mov_b32_e32 v17, s7
	v_add_co_u32_e32 v7, vcc, s6, v7
	v_addc_co_u32_e32 v8, vcc, v17, v8, vcc
	global_load_dword v17, v[7:8], off
	v_add_u32_e32 v7, s3, v14
	v_ashrrev_i32_e32 v8, 31, v7
	v_lshlrev_b64 v[7:8], 2, v[7:8]
	v_mov_b32_e32 v18, s9
	v_add_co_u32_e32 v7, vcc, s8, v7
	v_addc_co_u32_e32 v8, vcc, v18, v8, vcc
	global_load_dword v7, v[7:8], off
	s_add_i32 s3, s3, 1
	s_cmp_eq_u32 s33, s3
	s_waitcnt vmcnt(0)
	v_fmac_f32_e32 v16, v17, v7
	s_cbranch_scc1 .LBB19_18
.LBB19_21:                              ;   Parent Loop BB19_10 Depth=1
                                        ;     Parent Loop BB19_19 Depth=2
                                        ; =>    This Inner Loop Header: Depth=3
	s_and_b64 vcc, exec, s[12:13]
	s_cbranch_vccz .LBB19_23
; %bb.22:                               ;   in Loop: Header=BB19_21 Depth=3
	v_add_u32_e32 v7, s3, v13
	v_mad_u64_u32 v[7:8], s[30:31], v7, s33, v[6:7]
	s_cbranch_execnz .LBB19_20
	s_branch .LBB19_24
.LBB19_23:                              ;   in Loop: Header=BB19_21 Depth=3
                                        ; implicit-def: $vgpr7
.LBB19_24:                              ;   in Loop: Header=BB19_21 Depth=3
	v_add_u32_e32 v7, s3, v15
	s_branch .LBB19_20
.LBB19_25:
	s_or_b64 exec, exec, s[20:21]
.LBB19_26:
	s_or_b64 exec, exec, s[4:5]
	s_cmp_gt_i32 s33, 0
	v_cmp_eq_u32_e32 vcc, v5, v1
	s_cselect_b64 s[0:1], -1, 0
	s_mov_b32 s22, 0
	s_and_b64 s[4:5], s[0:1], vcc
	s_mov_b64 s[0:1], 0
	s_and_saveexec_b64 s[2:3], s[4:5]
	s_cbranch_execz .LBB19_39
; %bb.27:
	v_mul_lo_u32 v6, v4, s33
	s_cmp_eq_u32 s17, 0
	s_cselect_b64 s[0:1], -1, 0
	s_cmp_lg_u32 s18, 0
	v_add_u32_e32 v4, v6, v0
	v_mul_lo_u32 v4, s33, v4
	v_add_u32_e32 v7, 1, v0
	s_cselect_b64 s[4:5], -1, 0
	s_add_i32 s17, s33, 1
	v_add_u32_e32 v8, s33, v4
	v_cndmask_b32_e64 v4, 0, 1, s[0:1]
	s_lshl_b32 s23, s33, 5
	s_mov_b64 s[18:19], 0
	v_cmp_ne_u32_e64 s[0:1], 1, v4
	v_mov_b32_e32 v10, s9
                                        ; implicit-def: $sgpr12_sgpr13
	s_and_b64 vcc, exec, s[0:1]
	v_mov_b32_e32 v12, 1.0
	s_cbranch_vccnz .LBB19_29
.LBB19_28:
	v_add_u32_e32 v4, s22, v6
	v_mul_lo_u32 v4, v4, s33
	s_waitcnt vmcnt(0)
	v_mov_b32_e32 v11, s7
	v_add_u32_e32 v4, s22, v4
	v_ashrrev_i32_e32 v5, 31, v4
	v_lshlrev_b64 v[4:5], 2, v[4:5]
	v_add_co_u32_e32 v4, vcc, s6, v4
	v_addc_co_u32_e32 v5, vcc, v11, v5, vcc
	global_load_dword v12, v[4:5], off
.LBB19_29:                              ; =>This Loop Header: Depth=1
                                        ;     Child Loop BB19_34 Depth 2
	v_add_u32_e32 v4, s22, v9
	v_ashrrev_i32_e32 v5, 31, v4
	v_lshlrev_b64 v[4:5], 2, v[4:5]
	s_or_b64 s[12:13], s[12:13], exec
	v_add_co_u32_e32 v4, vcc, s8, v4
	v_addc_co_u32_e32 v5, vcc, v10, v5, vcc
	global_load_dword v11, v[4:5], off
	s_waitcnt vmcnt(1)
	v_cmp_neq_f32_e32 vcc, 0, v12
	s_and_saveexec_b64 s[20:21], vcc
	s_cbranch_execz .LBB19_31
; %bb.30:                               ;   in Loop: Header=BB19_29 Depth=1
	s_waitcnt vmcnt(0)
	v_div_scale_f32 v13, s[24:25], v12, v12, v11
	v_div_scale_f32 v14, vcc, v11, v12, v11
	s_andn2_b64 s[12:13], s[12:13], exec
	s_and_b64 s[18:19], s[18:19], exec
	s_or_b64 s[12:13], s[12:13], s[18:19]
	v_rcp_f32_e32 v15, v13
	v_fma_f32 v16, -v13, v15, 1.0
	v_fmac_f32_e32 v15, v16, v15
	v_mul_f32_e32 v16, v14, v15
	v_fma_f32 v17, -v13, v16, v14
	v_fmac_f32_e32 v16, v17, v15
	v_fma_f32 v13, -v13, v16, v14
	v_div_fmas_f32 v13, v13, v15, v16
	v_div_fixup_f32 v11, v13, v12, v11
	global_store_dword v[4:5], v11, off
.LBB19_31:                              ;   in Loop: Header=BB19_29 Depth=1
	s_or_b64 exec, exec, s[20:21]
	v_add_u32_e32 v12, s22, v7
	v_cmp_gt_i32_e32 vcc, s33, v12
	s_and_saveexec_b64 s[18:19], vcc
	s_cbranch_execz .LBB19_36
; %bb.32:                               ;   in Loop: Header=BB19_29 Depth=1
	v_add_u32_e32 v4, s22, v6
	v_mul_lo_u32 v13, v4, s33
	s_mov_b64 s[20:21], 0
	v_mov_b32_e32 v14, v8
	s_branch .LBB19_34
.LBB19_33:                              ;   in Loop: Header=BB19_34 Depth=2
	v_ashrrev_i32_e32 v5, 31, v4
	v_lshlrev_b64 v[4:5], 2, v[4:5]
	v_mov_b32_e32 v15, s7
	v_add_co_u32_e32 v4, vcc, s6, v4
	v_addc_co_u32_e32 v5, vcc, v15, v5, vcc
	global_load_dword v15, v[4:5], off
	v_add_u32_e32 v4, v9, v12
	v_ashrrev_i32_e32 v5, 31, v4
	v_lshlrev_b64 v[4:5], 2, v[4:5]
	v_mov_b32_e32 v16, s9
	v_add_co_u32_e32 v4, vcc, s8, v4
	v_addc_co_u32_e32 v5, vcc, v16, v5, vcc
	global_load_dword v16, v[4:5], off
	v_add_u32_e32 v12, 32, v12
	v_cmp_le_i32_e32 vcc, s33, v12
	s_or_b64 s[20:21], vcc, s[20:21]
	v_add_u32_e32 v14, s23, v14
	s_waitcnt vmcnt(0)
	v_fma_f32 v15, -v11, v15, v16
	global_store_dword v[4:5], v15, off
	s_andn2_b64 exec, exec, s[20:21]
	s_cbranch_execz .LBB19_36
.LBB19_34:                              ;   Parent Loop BB19_29 Depth=1
                                        ; =>  This Inner Loop Header: Depth=2
	s_andn2_b64 vcc, exec, s[4:5]
	v_mov_b32_e32 v4, v14
	s_cbranch_vccnz .LBB19_33
; %bb.35:                               ;   in Loop: Header=BB19_34 Depth=2
	v_add_u32_e32 v4, v12, v13
	s_branch .LBB19_33
.LBB19_36:                              ;   in Loop: Header=BB19_29 Depth=1
	s_or_b64 exec, exec, s[18:19]
	s_add_i32 s22, s22, 1
	s_cmp_eq_u32 s22, s33
	v_add_u32_e32 v8, s17, v8
	s_cbranch_scc1 .LBB19_38
; %bb.37:                               ;   in Loop: Header=BB19_29 Depth=1
	s_mov_b64 s[18:19], s[12:13]
	s_and_b64 vcc, exec, s[0:1]
	v_mov_b32_e32 v12, 1.0
	s_cbranch_vccnz .LBB19_29
	s_branch .LBB19_28
.LBB19_38:
	s_and_b64 s[0:1], s[12:13], exec
.LBB19_39:
	s_or_b64 exec, exec, s[2:3]
	v_cmp_eq_u32_e32 vcc, 0, v0
	s_and_b64 exec, exec, vcc
	s_cbranch_execz .LBB19_45
; %bb.40:
	v_mov_b32_e32 v0, s11
	v_add_co_u32_e32 v2, vcc, s10, v2
	v_addc_co_u32_e32 v3, vcc, v0, v3, vcc
	v_mov_b32_e32 v0, 1
	s_waitcnt vmcnt(0)
	global_store_dword v[2:3], v0, off
	s_and_b64 exec, exec, s[0:1]
	s_cbranch_execz .LBB19_45
; %bb.41:
	s_mov_b64 s[0:1], exec
	v_add_u32_e32 v0, s16, v1
	s_brev_b32 s2, -2
.LBB19_42:                              ; =>This Inner Loop Header: Depth=1
	s_ff1_i32_b64 s3, s[0:1]
	v_readlane_b32 s6, v0, s3
	s_lshl_b64 s[4:5], 1, s3
	s_min_i32 s2, s2, s6
	s_andn2_b64 s[0:1], s[0:1], s[4:5]
	s_cmp_lg_u64 s[0:1], 0
	s_cbranch_scc1 .LBB19_42
; %bb.43:
	v_mbcnt_lo_u32_b32 v0, exec_lo, 0
	v_mbcnt_hi_u32_b32 v0, exec_hi, v0
	v_cmp_eq_u32_e32 vcc, 0, v0
	s_and_saveexec_b64 s[0:1], vcc
	s_xor_b64 s[0:1], exec, s[0:1]
	s_cbranch_execz .LBB19_45
; %bb.44:
	v_mov_b32_e32 v0, 0
	v_mov_b32_e32 v1, s2
	global_atomic_smin v0, v1, s[14:15]
.LBB19_45:
	s_endpgm
	.section	.rodata,"a",@progbits
	.p2align	6, 0x0
	.amdhsa_kernel _ZN9rocsparseL19bsrsv_lower_generalILj128ELj32ELb1EfEEviNS_24const_host_device_scalarIT2_EEPKiS5_PKS2_iS7_PS2_PiS9_S9_21rocsparse_index_base_20rocsparse_diag_type_20rocsparse_direction_b
		.amdhsa_group_segment_fixed_size 0
		.amdhsa_private_segment_fixed_size 0
		.amdhsa_kernarg_size 104
		.amdhsa_user_sgpr_count 6
		.amdhsa_user_sgpr_private_segment_buffer 1
		.amdhsa_user_sgpr_dispatch_ptr 0
		.amdhsa_user_sgpr_queue_ptr 0
		.amdhsa_user_sgpr_kernarg_segment_ptr 1
		.amdhsa_user_sgpr_dispatch_id 0
		.amdhsa_user_sgpr_flat_scratch_init 0
		.amdhsa_user_sgpr_private_segment_size 0
		.amdhsa_uses_dynamic_stack 0
		.amdhsa_system_sgpr_private_segment_wavefront_offset 0
		.amdhsa_system_sgpr_workgroup_id_x 1
		.amdhsa_system_sgpr_workgroup_id_y 0
		.amdhsa_system_sgpr_workgroup_id_z 0
		.amdhsa_system_sgpr_workgroup_info 0
		.amdhsa_system_vgpr_workitem_id 0
		.amdhsa_next_free_vgpr 19
		.amdhsa_next_free_sgpr 35
		.amdhsa_reserve_vcc 1
		.amdhsa_reserve_flat_scratch 0
		.amdhsa_float_round_mode_32 0
		.amdhsa_float_round_mode_16_64 0
		.amdhsa_float_denorm_mode_32 3
		.amdhsa_float_denorm_mode_16_64 3
		.amdhsa_dx10_clamp 1
		.amdhsa_ieee_mode 1
		.amdhsa_fp16_overflow 0
		.amdhsa_exception_fp_ieee_invalid_op 0
		.amdhsa_exception_fp_denorm_src 0
		.amdhsa_exception_fp_ieee_div_zero 0
		.amdhsa_exception_fp_ieee_overflow 0
		.amdhsa_exception_fp_ieee_underflow 0
		.amdhsa_exception_fp_ieee_inexact 0
		.amdhsa_exception_int_div_zero 0
	.end_amdhsa_kernel
	.section	.text._ZN9rocsparseL19bsrsv_lower_generalILj128ELj32ELb1EfEEviNS_24const_host_device_scalarIT2_EEPKiS5_PKS2_iS7_PS2_PiS9_S9_21rocsparse_index_base_20rocsparse_diag_type_20rocsparse_direction_b,"axG",@progbits,_ZN9rocsparseL19bsrsv_lower_generalILj128ELj32ELb1EfEEviNS_24const_host_device_scalarIT2_EEPKiS5_PKS2_iS7_PS2_PiS9_S9_21rocsparse_index_base_20rocsparse_diag_type_20rocsparse_direction_b,comdat
.Lfunc_end19:
	.size	_ZN9rocsparseL19bsrsv_lower_generalILj128ELj32ELb1EfEEviNS_24const_host_device_scalarIT2_EEPKiS5_PKS2_iS7_PS2_PiS9_S9_21rocsparse_index_base_20rocsparse_diag_type_20rocsparse_direction_b, .Lfunc_end19-_ZN9rocsparseL19bsrsv_lower_generalILj128ELj32ELb1EfEEviNS_24const_host_device_scalarIT2_EEPKiS5_PKS2_iS7_PS2_PiS9_S9_21rocsparse_index_base_20rocsparse_diag_type_20rocsparse_direction_b
                                        ; -- End function
	.set _ZN9rocsparseL19bsrsv_lower_generalILj128ELj32ELb1EfEEviNS_24const_host_device_scalarIT2_EEPKiS5_PKS2_iS7_PS2_PiS9_S9_21rocsparse_index_base_20rocsparse_diag_type_20rocsparse_direction_b.num_vgpr, 19
	.set _ZN9rocsparseL19bsrsv_lower_generalILj128ELj32ELb1EfEEviNS_24const_host_device_scalarIT2_EEPKiS5_PKS2_iS7_PS2_PiS9_S9_21rocsparse_index_base_20rocsparse_diag_type_20rocsparse_direction_b.num_agpr, 0
	.set _ZN9rocsparseL19bsrsv_lower_generalILj128ELj32ELb1EfEEviNS_24const_host_device_scalarIT2_EEPKiS5_PKS2_iS7_PS2_PiS9_S9_21rocsparse_index_base_20rocsparse_diag_type_20rocsparse_direction_b.numbered_sgpr, 35
	.set _ZN9rocsparseL19bsrsv_lower_generalILj128ELj32ELb1EfEEviNS_24const_host_device_scalarIT2_EEPKiS5_PKS2_iS7_PS2_PiS9_S9_21rocsparse_index_base_20rocsparse_diag_type_20rocsparse_direction_b.num_named_barrier, 0
	.set _ZN9rocsparseL19bsrsv_lower_generalILj128ELj32ELb1EfEEviNS_24const_host_device_scalarIT2_EEPKiS5_PKS2_iS7_PS2_PiS9_S9_21rocsparse_index_base_20rocsparse_diag_type_20rocsparse_direction_b.private_seg_size, 0
	.set _ZN9rocsparseL19bsrsv_lower_generalILj128ELj32ELb1EfEEviNS_24const_host_device_scalarIT2_EEPKiS5_PKS2_iS7_PS2_PiS9_S9_21rocsparse_index_base_20rocsparse_diag_type_20rocsparse_direction_b.uses_vcc, 1
	.set _ZN9rocsparseL19bsrsv_lower_generalILj128ELj32ELb1EfEEviNS_24const_host_device_scalarIT2_EEPKiS5_PKS2_iS7_PS2_PiS9_S9_21rocsparse_index_base_20rocsparse_diag_type_20rocsparse_direction_b.uses_flat_scratch, 0
	.set _ZN9rocsparseL19bsrsv_lower_generalILj128ELj32ELb1EfEEviNS_24const_host_device_scalarIT2_EEPKiS5_PKS2_iS7_PS2_PiS9_S9_21rocsparse_index_base_20rocsparse_diag_type_20rocsparse_direction_b.has_dyn_sized_stack, 0
	.set _ZN9rocsparseL19bsrsv_lower_generalILj128ELj32ELb1EfEEviNS_24const_host_device_scalarIT2_EEPKiS5_PKS2_iS7_PS2_PiS9_S9_21rocsparse_index_base_20rocsparse_diag_type_20rocsparse_direction_b.has_recursion, 0
	.set _ZN9rocsparseL19bsrsv_lower_generalILj128ELj32ELb1EfEEviNS_24const_host_device_scalarIT2_EEPKiS5_PKS2_iS7_PS2_PiS9_S9_21rocsparse_index_base_20rocsparse_diag_type_20rocsparse_direction_b.has_indirect_call, 0
	.section	.AMDGPU.csdata,"",@progbits
; Kernel info:
; codeLenInByte = 1612
; TotalNumSgprs: 39
; NumVgprs: 19
; ScratchSize: 0
; MemoryBound: 0
; FloatMode: 240
; IeeeMode: 1
; LDSByteSize: 0 bytes/workgroup (compile time only)
; SGPRBlocks: 4
; VGPRBlocks: 4
; NumSGPRsForWavesPerEU: 39
; NumVGPRsForWavesPerEU: 19
; Occupancy: 10
; WaveLimiterHint : 1
; COMPUTE_PGM_RSRC2:SCRATCH_EN: 0
; COMPUTE_PGM_RSRC2:USER_SGPR: 6
; COMPUTE_PGM_RSRC2:TRAP_HANDLER: 0
; COMPUTE_PGM_RSRC2:TGID_X_EN: 1
; COMPUTE_PGM_RSRC2:TGID_Y_EN: 0
; COMPUTE_PGM_RSRC2:TGID_Z_EN: 0
; COMPUTE_PGM_RSRC2:TIDIG_COMP_CNT: 0
	.section	.text._ZN9rocsparseL19bsrsv_lower_generalILj128ELj32ELb0EfEEviNS_24const_host_device_scalarIT2_EEPKiS5_PKS2_iS7_PS2_PiS9_S9_21rocsparse_index_base_20rocsparse_diag_type_20rocsparse_direction_b,"axG",@progbits,_ZN9rocsparseL19bsrsv_lower_generalILj128ELj32ELb0EfEEviNS_24const_host_device_scalarIT2_EEPKiS5_PKS2_iS7_PS2_PiS9_S9_21rocsparse_index_base_20rocsparse_diag_type_20rocsparse_direction_b,comdat
	.globl	_ZN9rocsparseL19bsrsv_lower_generalILj128ELj32ELb0EfEEviNS_24const_host_device_scalarIT2_EEPKiS5_PKS2_iS7_PS2_PiS9_S9_21rocsparse_index_base_20rocsparse_diag_type_20rocsparse_direction_b ; -- Begin function _ZN9rocsparseL19bsrsv_lower_generalILj128ELj32ELb0EfEEviNS_24const_host_device_scalarIT2_EEPKiS5_PKS2_iS7_PS2_PiS9_S9_21rocsparse_index_base_20rocsparse_diag_type_20rocsparse_direction_b
	.p2align	8
	.type	_ZN9rocsparseL19bsrsv_lower_generalILj128ELj32ELb0EfEEviNS_24const_host_device_scalarIT2_EEPKiS5_PKS2_iS7_PS2_PiS9_S9_21rocsparse_index_base_20rocsparse_diag_type_20rocsparse_direction_b,@function
_ZN9rocsparseL19bsrsv_lower_generalILj128ELj32ELb0EfEEviNS_24const_host_device_scalarIT2_EEPKiS5_PKS2_iS7_PS2_PiS9_S9_21rocsparse_index_base_20rocsparse_diag_type_20rocsparse_direction_b: ; @_ZN9rocsparseL19bsrsv_lower_generalILj128ELj32ELb0EfEEviNS_24const_host_device_scalarIT2_EEPKiS5_PKS2_iS7_PS2_PiS9_S9_21rocsparse_index_base_20rocsparse_diag_type_20rocsparse_direction_b
; %bb.0:
	s_load_dwordx4 s[16:19], s[4:5], 0x58
	s_load_dwordx2 s[20:21], s[4:5], 0x8
	s_waitcnt lgkmcnt(0)
	s_bitcmp1_b32 s19, 0
	s_cselect_b64 s[0:1], -1, 0
	s_and_b64 vcc, exec, s[0:1]
	s_cbranch_vccnz .LBB20_2
; %bb.1:
	s_load_dword s20, s[20:21], 0x0
.LBB20_2:
	s_nop 0
	s_load_dword s19, s[4:5], 0x0
	s_lshl_b32 s0, s6, 2
	v_lshrrev_b32_e32 v1, 5, v0
	s_and_b32 s0, s0, 0x7fffffc
	v_or_b32_e32 v1, s0, v1
	s_waitcnt lgkmcnt(0)
	v_cmp_gt_i32_e32 vcc, s19, v1
	s_and_saveexec_b64 s[0:1], vcc
	s_cbranch_execz .LBB20_43
; %bb.3:
	s_load_dwordx8 s[8:15], s[4:5], 0x38
	v_lshlrev_b32_e32 v1, 2, v1
	s_load_dword s33, s[4:5], 0x28
	v_and_b32_e32 v0, 31, v0
	s_waitcnt lgkmcnt(0)
	global_load_dword v1, v1, s[12:13]
	s_load_dwordx4 s[0:3], s[4:5], 0x10
	s_load_dwordx2 s[6:7], s[4:5], 0x20
	s_waitcnt lgkmcnt(0)
	v_mov_b32_e32 v5, s1
	s_waitcnt vmcnt(0)
	v_ashrrev_i32_e32 v2, 31, v1
	v_lshlrev_b64 v[2:3], 2, v[1:2]
	v_add_co_u32_e32 v4, vcc, s0, v2
	v_addc_co_u32_e32 v5, vcc, v5, v3, vcc
	global_load_dwordx2 v[5:6], v[4:5], off
	v_cmp_gt_i32_e64 s[0:1], s33, v0
	s_and_saveexec_b64 s[12:13], s[0:1]
	s_cbranch_execz .LBB20_6
; %bb.4:
	v_mad_u64_u32 v[7:8], s[22:23], v1, s33, v[0:1]
	s_load_dwordx2 s[4:5], s[4:5], 0x30
	v_ashrrev_i32_e32 v8, 31, v7
	v_lshlrev_b64 v[9:10], 2, v[7:8]
	s_waitcnt lgkmcnt(0)
	v_mov_b32_e32 v4, s5
	v_add_co_u32_e32 v7, vcc, s4, v9
	v_addc_co_u32_e32 v8, vcc, v4, v10, vcc
	v_mov_b32_e32 v4, s9
	v_add_co_u32_e32 v9, vcc, s8, v9
	v_addc_co_u32_e32 v10, vcc, v4, v10, vcc
	s_mov_b64 s[4:5], 0
	v_mov_b32_e32 v4, v0
.LBB20_5:                               ; =>This Inner Loop Header: Depth=1
	global_load_dword v11, v[7:8], off
	v_add_co_u32_e32 v7, vcc, 0x80, v7
	v_add_u32_e32 v4, 32, v4
	v_addc_co_u32_e32 v8, vcc, 0, v8, vcc
	v_cmp_le_i32_e32 vcc, s33, v4
	s_or_b64 s[4:5], vcc, s[4:5]
	s_waitcnt vmcnt(0)
	v_mul_f32_e32 v11, s20, v11
	global_store_dword v[9:10], v11, off
	v_add_co_u32_e32 v9, vcc, 0x80, v9
	v_addc_co_u32_e32 v10, vcc, 0, v10, vcc
	s_andn2_b64 exec, exec, s[4:5]
	s_cbranch_execnz .LBB20_5
.LBB20_6:
	s_or_b64 exec, exec, s[12:13]
	v_mul_lo_u32 v9, v1, s33
	s_waitcnt vmcnt(0)
	v_subrev_u32_e32 v4, s16, v5
	v_cmp_lt_i32_e32 vcc, v5, v6
	v_mov_b32_e32 v5, s19
	s_and_saveexec_b64 s[4:5], vcc
	s_cbranch_execz .LBB20_24
; %bb.7:
	v_mad_u64_u32 v[7:8], s[12:13], s33, v4, v[0:1]
	s_cmp_lg_u32 s18, 0
	v_subrev_u32_e32 v10, s16, v6
	v_mul_lo_u32 v11, s33, v7
	s_cselect_b64 s[12:13], -1, 0
	s_mul_i32 s19, s33, s33
	s_lshl_b32 s34, s33, 5
	s_mov_b64 s[20:21], 0
	v_mov_b32_e32 v12, s3
                                        ; implicit-def: $sgpr22_sgpr23
	s_branch .LBB20_10
.LBB20_8:                               ;   in Loop: Header=BB20_10 Depth=1
	s_or_b64 exec, exec, s[26:27]
	v_add_u32_e32 v4, 1, v4
	v_cmp_ge_i32_e32 vcc, v4, v10
	s_andn2_b64 s[22:23], s[22:23], exec
	s_and_b64 s[26:27], vcc, exec
	v_add_u32_e32 v11, s19, v11
	s_or_b64 s[22:23], s[22:23], s[26:27]
.LBB20_9:                               ;   in Loop: Header=BB20_10 Depth=1
	s_or_b64 exec, exec, s[24:25]
	s_and_b64 s[24:25], exec, s[22:23]
	s_or_b64 s[20:21], s[24:25], s[20:21]
	s_andn2_b64 exec, exec, s[20:21]
	s_cbranch_execz .LBB20_23
.LBB20_10:                              ; =>This Loop Header: Depth=1
                                        ;     Child Loop BB20_13 Depth 2
                                        ;     Child Loop BB20_17 Depth 2
                                        ;       Child Loop BB20_19 Depth 3
	v_ashrrev_i32_e32 v5, 31, v4
	v_lshlrev_b64 v[5:6], 2, v[4:5]
	s_or_b64 s[22:23], s[22:23], exec
	v_add_co_u32_e32 v5, vcc, s2, v5
	v_addc_co_u32_e32 v6, vcc, v12, v6, vcc
	global_load_dword v5, v[5:6], off
	s_waitcnt vmcnt(0)
	v_subrev_u32_e32 v5, s16, v5
	v_cmp_lt_i32_e32 vcc, v5, v1
	s_and_saveexec_b64 s[24:25], vcc
	s_cbranch_execz .LBB20_9
; %bb.11:                               ;   in Loop: Header=BB20_10 Depth=1
	v_ashrrev_i32_e32 v6, 31, v5
	v_lshlrev_b64 v[6:7], 2, v[5:6]
	v_mov_b32_e32 v8, s11
	v_add_co_u32_e32 v6, vcc, s10, v6
	v_addc_co_u32_e32 v7, vcc, v8, v7, vcc
	global_load_dword v8, v[6:7], off glc
	s_waitcnt vmcnt(0)
	v_cmp_eq_u32_e32 vcc, 0, v8
	s_and_saveexec_b64 s[26:27], vcc
	s_cbranch_execz .LBB20_14
; %bb.12:                               ;   in Loop: Header=BB20_10 Depth=1
	s_mov_b64 s[28:29], 0
.LBB20_13:                              ;   Parent Loop BB20_10 Depth=1
                                        ; =>  This Inner Loop Header: Depth=2
	global_load_dword v8, v[6:7], off glc
	s_waitcnt vmcnt(0)
	v_cmp_ne_u32_e32 vcc, 0, v8
	s_or_b64 s[28:29], vcc, s[28:29]
	s_andn2_b64 exec, exec, s[28:29]
	s_cbranch_execnz .LBB20_13
.LBB20_14:                              ;   in Loop: Header=BB20_10 Depth=1
	s_or_b64 exec, exec, s[26:27]
	buffer_wbinvl1_vol
	s_and_saveexec_b64 s[26:27], s[0:1]
	s_cbranch_execz .LBB20_8
; %bb.15:                               ;   in Loop: Header=BB20_10 Depth=1
	v_mul_lo_u32 v13, v4, s33
	v_mul_lo_u32 v14, v5, s33
	s_mov_b64 s[28:29], 0
	v_mov_b32_e32 v15, v11
	v_mov_b32_e32 v6, v0
	s_branch .LBB20_17
.LBB20_16:                              ;   in Loop: Header=BB20_17 Depth=2
	v_add_u32_e32 v7, v6, v9
	v_ashrrev_i32_e32 v8, 31, v7
	v_lshlrev_b64 v[7:8], 2, v[7:8]
	v_mov_b32_e32 v17, s9
	v_add_co_u32_e32 v7, vcc, s8, v7
	v_addc_co_u32_e32 v8, vcc, v17, v8, vcc
	global_load_dword v17, v[7:8], off
	v_add_u32_e32 v6, 32, v6
	v_cmp_le_i32_e32 vcc, s33, v6
	s_or_b64 s[28:29], vcc, s[28:29]
	v_add_u32_e32 v15, s34, v15
	s_waitcnt vmcnt(0)
	v_sub_f32_e32 v16, v17, v16
	global_store_dword v[7:8], v16, off
	s_andn2_b64 exec, exec, s[28:29]
	s_cbranch_execz .LBB20_8
.LBB20_17:                              ;   Parent Loop BB20_10 Depth=1
                                        ; =>  This Loop Header: Depth=2
                                        ;       Child Loop BB20_19 Depth 3
	v_mov_b32_e32 v16, 0
	s_mov_b32 s3, 0
	s_branch .LBB20_19
.LBB20_18:                              ;   in Loop: Header=BB20_19 Depth=3
	v_ashrrev_i32_e32 v8, 31, v7
	v_lshlrev_b64 v[7:8], 2, v[7:8]
	v_mov_b32_e32 v17, s7
	v_add_co_u32_e32 v7, vcc, s6, v7
	v_addc_co_u32_e32 v8, vcc, v17, v8, vcc
	global_load_dword v17, v[7:8], off
	v_add_u32_e32 v7, s3, v14
	v_ashrrev_i32_e32 v8, 31, v7
	v_lshlrev_b64 v[7:8], 2, v[7:8]
	v_mov_b32_e32 v18, s9
	v_add_co_u32_e32 v7, vcc, s8, v7
	v_addc_co_u32_e32 v8, vcc, v18, v8, vcc
	global_load_dword v7, v[7:8], off
	s_add_i32 s3, s3, 1
	s_cmp_eq_u32 s33, s3
	s_waitcnt vmcnt(0)
	v_fmac_f32_e32 v16, v17, v7
	s_cbranch_scc1 .LBB20_16
.LBB20_19:                              ;   Parent Loop BB20_10 Depth=1
                                        ;     Parent Loop BB20_17 Depth=2
                                        ; =>    This Inner Loop Header: Depth=3
	s_and_b64 vcc, exec, s[12:13]
	s_cbranch_vccz .LBB20_21
; %bb.20:                               ;   in Loop: Header=BB20_19 Depth=3
	v_add_u32_e32 v7, s3, v13
	v_mad_u64_u32 v[7:8], s[30:31], v7, s33, v[6:7]
	s_cbranch_execnz .LBB20_18
	s_branch .LBB20_22
.LBB20_21:                              ;   in Loop: Header=BB20_19 Depth=3
                                        ; implicit-def: $vgpr7
.LBB20_22:                              ;   in Loop: Header=BB20_19 Depth=3
	v_add_u32_e32 v7, s3, v15
	s_branch .LBB20_18
.LBB20_23:
	s_or_b64 exec, exec, s[20:21]
.LBB20_24:
	s_or_b64 exec, exec, s[4:5]
	s_cmp_gt_i32 s33, 0
	v_cmp_eq_u32_e32 vcc, v5, v1
	s_cselect_b64 s[0:1], -1, 0
	s_mov_b32 s22, 0
	s_and_b64 s[4:5], s[0:1], vcc
	s_mov_b64 s[0:1], 0
	s_and_saveexec_b64 s[2:3], s[4:5]
	s_cbranch_execz .LBB20_37
; %bb.25:
	v_mul_lo_u32 v6, v4, s33
	s_cmp_eq_u32 s17, 0
	s_cselect_b64 s[0:1], -1, 0
	s_cmp_lg_u32 s18, 0
	v_add_u32_e32 v4, v6, v0
	v_mul_lo_u32 v4, s33, v4
	v_add_u32_e32 v7, 1, v0
	s_cselect_b64 s[4:5], -1, 0
	s_add_i32 s17, s33, 1
	v_add_u32_e32 v8, s33, v4
	v_cndmask_b32_e64 v4, 0, 1, s[0:1]
	s_lshl_b32 s23, s33, 5
	s_mov_b64 s[18:19], 0
	v_cmp_ne_u32_e64 s[0:1], 1, v4
	v_mov_b32_e32 v10, s9
                                        ; implicit-def: $sgpr12_sgpr13
	s_and_b64 vcc, exec, s[0:1]
	v_mov_b32_e32 v12, 1.0
	s_cbranch_vccnz .LBB20_27
.LBB20_26:
	v_add_u32_e32 v4, s22, v6
	v_mul_lo_u32 v4, v4, s33
	s_waitcnt vmcnt(0)
	v_mov_b32_e32 v11, s7
	v_add_u32_e32 v4, s22, v4
	v_ashrrev_i32_e32 v5, 31, v4
	v_lshlrev_b64 v[4:5], 2, v[4:5]
	v_add_co_u32_e32 v4, vcc, s6, v4
	v_addc_co_u32_e32 v5, vcc, v11, v5, vcc
	global_load_dword v12, v[4:5], off
.LBB20_27:                              ; =>This Loop Header: Depth=1
                                        ;     Child Loop BB20_32 Depth 2
	v_add_u32_e32 v4, s22, v9
	v_ashrrev_i32_e32 v5, 31, v4
	v_lshlrev_b64 v[4:5], 2, v[4:5]
	s_or_b64 s[12:13], s[12:13], exec
	v_add_co_u32_e32 v4, vcc, s8, v4
	v_addc_co_u32_e32 v5, vcc, v10, v5, vcc
	global_load_dword v11, v[4:5], off
	s_waitcnt vmcnt(1)
	v_cmp_neq_f32_e32 vcc, 0, v12
	s_and_saveexec_b64 s[20:21], vcc
	s_cbranch_execz .LBB20_29
; %bb.28:                               ;   in Loop: Header=BB20_27 Depth=1
	s_waitcnt vmcnt(0)
	v_div_scale_f32 v13, s[24:25], v12, v12, v11
	v_div_scale_f32 v14, vcc, v11, v12, v11
	s_andn2_b64 s[12:13], s[12:13], exec
	s_and_b64 s[18:19], s[18:19], exec
	s_or_b64 s[12:13], s[12:13], s[18:19]
	v_rcp_f32_e32 v15, v13
	v_fma_f32 v16, -v13, v15, 1.0
	v_fmac_f32_e32 v15, v16, v15
	v_mul_f32_e32 v16, v14, v15
	v_fma_f32 v17, -v13, v16, v14
	v_fmac_f32_e32 v16, v17, v15
	v_fma_f32 v13, -v13, v16, v14
	v_div_fmas_f32 v13, v13, v15, v16
	v_div_fixup_f32 v11, v13, v12, v11
	global_store_dword v[4:5], v11, off
.LBB20_29:                              ;   in Loop: Header=BB20_27 Depth=1
	s_or_b64 exec, exec, s[20:21]
	v_add_u32_e32 v12, s22, v7
	v_cmp_gt_i32_e32 vcc, s33, v12
	s_and_saveexec_b64 s[18:19], vcc
	s_cbranch_execz .LBB20_34
; %bb.30:                               ;   in Loop: Header=BB20_27 Depth=1
	v_add_u32_e32 v4, s22, v6
	v_mul_lo_u32 v13, v4, s33
	s_mov_b64 s[20:21], 0
	v_mov_b32_e32 v14, v8
	s_branch .LBB20_32
.LBB20_31:                              ;   in Loop: Header=BB20_32 Depth=2
	v_ashrrev_i32_e32 v5, 31, v4
	v_lshlrev_b64 v[4:5], 2, v[4:5]
	v_mov_b32_e32 v15, s7
	v_add_co_u32_e32 v4, vcc, s6, v4
	v_addc_co_u32_e32 v5, vcc, v15, v5, vcc
	global_load_dword v15, v[4:5], off
	v_add_u32_e32 v4, v9, v12
	v_ashrrev_i32_e32 v5, 31, v4
	v_lshlrev_b64 v[4:5], 2, v[4:5]
	v_mov_b32_e32 v16, s9
	v_add_co_u32_e32 v4, vcc, s8, v4
	v_addc_co_u32_e32 v5, vcc, v16, v5, vcc
	global_load_dword v16, v[4:5], off
	v_add_u32_e32 v12, 32, v12
	v_cmp_le_i32_e32 vcc, s33, v12
	s_or_b64 s[20:21], vcc, s[20:21]
	v_add_u32_e32 v14, s23, v14
	s_waitcnt vmcnt(0)
	v_fma_f32 v15, -v11, v15, v16
	global_store_dword v[4:5], v15, off
	s_andn2_b64 exec, exec, s[20:21]
	s_cbranch_execz .LBB20_34
.LBB20_32:                              ;   Parent Loop BB20_27 Depth=1
                                        ; =>  This Inner Loop Header: Depth=2
	s_andn2_b64 vcc, exec, s[4:5]
	v_mov_b32_e32 v4, v14
	s_cbranch_vccnz .LBB20_31
; %bb.33:                               ;   in Loop: Header=BB20_32 Depth=2
	v_add_u32_e32 v4, v12, v13
	s_branch .LBB20_31
.LBB20_34:                              ;   in Loop: Header=BB20_27 Depth=1
	s_or_b64 exec, exec, s[18:19]
	s_add_i32 s22, s22, 1
	s_cmp_eq_u32 s22, s33
	v_add_u32_e32 v8, s17, v8
	s_cbranch_scc1 .LBB20_36
; %bb.35:                               ;   in Loop: Header=BB20_27 Depth=1
	s_mov_b64 s[18:19], s[12:13]
	s_and_b64 vcc, exec, s[0:1]
	v_mov_b32_e32 v12, 1.0
	s_cbranch_vccnz .LBB20_27
	s_branch .LBB20_26
.LBB20_36:
	s_and_b64 s[0:1], s[12:13], exec
.LBB20_37:
	s_or_b64 exec, exec, s[2:3]
	v_cmp_eq_u32_e32 vcc, 0, v0
	s_and_b64 exec, exec, vcc
	s_cbranch_execz .LBB20_43
; %bb.38:
	v_mov_b32_e32 v0, s11
	v_add_co_u32_e32 v2, vcc, s10, v2
	v_addc_co_u32_e32 v3, vcc, v0, v3, vcc
	v_mov_b32_e32 v0, 1
	s_waitcnt vmcnt(0)
	global_store_dword v[2:3], v0, off
	s_and_b64 exec, exec, s[0:1]
	s_cbranch_execz .LBB20_43
; %bb.39:
	s_mov_b64 s[0:1], exec
	v_add_u32_e32 v0, s16, v1
	s_brev_b32 s2, -2
.LBB20_40:                              ; =>This Inner Loop Header: Depth=1
	s_ff1_i32_b64 s3, s[0:1]
	v_readlane_b32 s6, v0, s3
	s_lshl_b64 s[4:5], 1, s3
	s_min_i32 s2, s2, s6
	s_andn2_b64 s[0:1], s[0:1], s[4:5]
	s_cmp_lg_u64 s[0:1], 0
	s_cbranch_scc1 .LBB20_40
; %bb.41:
	v_mbcnt_lo_u32_b32 v0, exec_lo, 0
	v_mbcnt_hi_u32_b32 v0, exec_hi, v0
	v_cmp_eq_u32_e32 vcc, 0, v0
	s_and_saveexec_b64 s[0:1], vcc
	s_xor_b64 s[0:1], exec, s[0:1]
	s_cbranch_execz .LBB20_43
; %bb.42:
	v_mov_b32_e32 v0, 0
	v_mov_b32_e32 v1, s2
	global_atomic_smin v0, v1, s[14:15]
.LBB20_43:
	s_endpgm
	.section	.rodata,"a",@progbits
	.p2align	6, 0x0
	.amdhsa_kernel _ZN9rocsparseL19bsrsv_lower_generalILj128ELj32ELb0EfEEviNS_24const_host_device_scalarIT2_EEPKiS5_PKS2_iS7_PS2_PiS9_S9_21rocsparse_index_base_20rocsparse_diag_type_20rocsparse_direction_b
		.amdhsa_group_segment_fixed_size 0
		.amdhsa_private_segment_fixed_size 0
		.amdhsa_kernarg_size 104
		.amdhsa_user_sgpr_count 6
		.amdhsa_user_sgpr_private_segment_buffer 1
		.amdhsa_user_sgpr_dispatch_ptr 0
		.amdhsa_user_sgpr_queue_ptr 0
		.amdhsa_user_sgpr_kernarg_segment_ptr 1
		.amdhsa_user_sgpr_dispatch_id 0
		.amdhsa_user_sgpr_flat_scratch_init 0
		.amdhsa_user_sgpr_private_segment_size 0
		.amdhsa_uses_dynamic_stack 0
		.amdhsa_system_sgpr_private_segment_wavefront_offset 0
		.amdhsa_system_sgpr_workgroup_id_x 1
		.amdhsa_system_sgpr_workgroup_id_y 0
		.amdhsa_system_sgpr_workgroup_id_z 0
		.amdhsa_system_sgpr_workgroup_info 0
		.amdhsa_system_vgpr_workitem_id 0
		.amdhsa_next_free_vgpr 19
		.amdhsa_next_free_sgpr 35
		.amdhsa_reserve_vcc 1
		.amdhsa_reserve_flat_scratch 0
		.amdhsa_float_round_mode_32 0
		.amdhsa_float_round_mode_16_64 0
		.amdhsa_float_denorm_mode_32 3
		.amdhsa_float_denorm_mode_16_64 3
		.amdhsa_dx10_clamp 1
		.amdhsa_ieee_mode 1
		.amdhsa_fp16_overflow 0
		.amdhsa_exception_fp_ieee_invalid_op 0
		.amdhsa_exception_fp_denorm_src 0
		.amdhsa_exception_fp_ieee_div_zero 0
		.amdhsa_exception_fp_ieee_overflow 0
		.amdhsa_exception_fp_ieee_underflow 0
		.amdhsa_exception_fp_ieee_inexact 0
		.amdhsa_exception_int_div_zero 0
	.end_amdhsa_kernel
	.section	.text._ZN9rocsparseL19bsrsv_lower_generalILj128ELj32ELb0EfEEviNS_24const_host_device_scalarIT2_EEPKiS5_PKS2_iS7_PS2_PiS9_S9_21rocsparse_index_base_20rocsparse_diag_type_20rocsparse_direction_b,"axG",@progbits,_ZN9rocsparseL19bsrsv_lower_generalILj128ELj32ELb0EfEEviNS_24const_host_device_scalarIT2_EEPKiS5_PKS2_iS7_PS2_PiS9_S9_21rocsparse_index_base_20rocsparse_diag_type_20rocsparse_direction_b,comdat
.Lfunc_end20:
	.size	_ZN9rocsparseL19bsrsv_lower_generalILj128ELj32ELb0EfEEviNS_24const_host_device_scalarIT2_EEPKiS5_PKS2_iS7_PS2_PiS9_S9_21rocsparse_index_base_20rocsparse_diag_type_20rocsparse_direction_b, .Lfunc_end20-_ZN9rocsparseL19bsrsv_lower_generalILj128ELj32ELb0EfEEviNS_24const_host_device_scalarIT2_EEPKiS5_PKS2_iS7_PS2_PiS9_S9_21rocsparse_index_base_20rocsparse_diag_type_20rocsparse_direction_b
                                        ; -- End function
	.set _ZN9rocsparseL19bsrsv_lower_generalILj128ELj32ELb0EfEEviNS_24const_host_device_scalarIT2_EEPKiS5_PKS2_iS7_PS2_PiS9_S9_21rocsparse_index_base_20rocsparse_diag_type_20rocsparse_direction_b.num_vgpr, 19
	.set _ZN9rocsparseL19bsrsv_lower_generalILj128ELj32ELb0EfEEviNS_24const_host_device_scalarIT2_EEPKiS5_PKS2_iS7_PS2_PiS9_S9_21rocsparse_index_base_20rocsparse_diag_type_20rocsparse_direction_b.num_agpr, 0
	.set _ZN9rocsparseL19bsrsv_lower_generalILj128ELj32ELb0EfEEviNS_24const_host_device_scalarIT2_EEPKiS5_PKS2_iS7_PS2_PiS9_S9_21rocsparse_index_base_20rocsparse_diag_type_20rocsparse_direction_b.numbered_sgpr, 35
	.set _ZN9rocsparseL19bsrsv_lower_generalILj128ELj32ELb0EfEEviNS_24const_host_device_scalarIT2_EEPKiS5_PKS2_iS7_PS2_PiS9_S9_21rocsparse_index_base_20rocsparse_diag_type_20rocsparse_direction_b.num_named_barrier, 0
	.set _ZN9rocsparseL19bsrsv_lower_generalILj128ELj32ELb0EfEEviNS_24const_host_device_scalarIT2_EEPKiS5_PKS2_iS7_PS2_PiS9_S9_21rocsparse_index_base_20rocsparse_diag_type_20rocsparse_direction_b.private_seg_size, 0
	.set _ZN9rocsparseL19bsrsv_lower_generalILj128ELj32ELb0EfEEviNS_24const_host_device_scalarIT2_EEPKiS5_PKS2_iS7_PS2_PiS9_S9_21rocsparse_index_base_20rocsparse_diag_type_20rocsparse_direction_b.uses_vcc, 1
	.set _ZN9rocsparseL19bsrsv_lower_generalILj128ELj32ELb0EfEEviNS_24const_host_device_scalarIT2_EEPKiS5_PKS2_iS7_PS2_PiS9_S9_21rocsparse_index_base_20rocsparse_diag_type_20rocsparse_direction_b.uses_flat_scratch, 0
	.set _ZN9rocsparseL19bsrsv_lower_generalILj128ELj32ELb0EfEEviNS_24const_host_device_scalarIT2_EEPKiS5_PKS2_iS7_PS2_PiS9_S9_21rocsparse_index_base_20rocsparse_diag_type_20rocsparse_direction_b.has_dyn_sized_stack, 0
	.set _ZN9rocsparseL19bsrsv_lower_generalILj128ELj32ELb0EfEEviNS_24const_host_device_scalarIT2_EEPKiS5_PKS2_iS7_PS2_PiS9_S9_21rocsparse_index_base_20rocsparse_diag_type_20rocsparse_direction_b.has_recursion, 0
	.set _ZN9rocsparseL19bsrsv_lower_generalILj128ELj32ELb0EfEEviNS_24const_host_device_scalarIT2_EEPKiS5_PKS2_iS7_PS2_PiS9_S9_21rocsparse_index_base_20rocsparse_diag_type_20rocsparse_direction_b.has_indirect_call, 0
	.section	.AMDGPU.csdata,"",@progbits
; Kernel info:
; codeLenInByte = 1556
; TotalNumSgprs: 39
; NumVgprs: 19
; ScratchSize: 0
; MemoryBound: 0
; FloatMode: 240
; IeeeMode: 1
; LDSByteSize: 0 bytes/workgroup (compile time only)
; SGPRBlocks: 4
; VGPRBlocks: 4
; NumSGPRsForWavesPerEU: 39
; NumVGPRsForWavesPerEU: 19
; Occupancy: 10
; WaveLimiterHint : 1
; COMPUTE_PGM_RSRC2:SCRATCH_EN: 0
; COMPUTE_PGM_RSRC2:USER_SGPR: 6
; COMPUTE_PGM_RSRC2:TRAP_HANDLER: 0
; COMPUTE_PGM_RSRC2:TGID_X_EN: 1
; COMPUTE_PGM_RSRC2:TGID_Y_EN: 0
; COMPUTE_PGM_RSRC2:TGID_Z_EN: 0
; COMPUTE_PGM_RSRC2:TIDIG_COMP_CNT: 0
	.section	.text._ZN9rocsparseL19bsrsv_upper_generalILj128ELj32ELb1EfEEviNS_24const_host_device_scalarIT2_EEPKiS5_PKS2_iS7_PS2_PiS9_S9_21rocsparse_index_base_20rocsparse_diag_type_20rocsparse_direction_b,"axG",@progbits,_ZN9rocsparseL19bsrsv_upper_generalILj128ELj32ELb1EfEEviNS_24const_host_device_scalarIT2_EEPKiS5_PKS2_iS7_PS2_PiS9_S9_21rocsparse_index_base_20rocsparse_diag_type_20rocsparse_direction_b,comdat
	.globl	_ZN9rocsparseL19bsrsv_upper_generalILj128ELj32ELb1EfEEviNS_24const_host_device_scalarIT2_EEPKiS5_PKS2_iS7_PS2_PiS9_S9_21rocsparse_index_base_20rocsparse_diag_type_20rocsparse_direction_b ; -- Begin function _ZN9rocsparseL19bsrsv_upper_generalILj128ELj32ELb1EfEEviNS_24const_host_device_scalarIT2_EEPKiS5_PKS2_iS7_PS2_PiS9_S9_21rocsparse_index_base_20rocsparse_diag_type_20rocsparse_direction_b
	.p2align	8
	.type	_ZN9rocsparseL19bsrsv_upper_generalILj128ELj32ELb1EfEEviNS_24const_host_device_scalarIT2_EEPKiS5_PKS2_iS7_PS2_PiS9_S9_21rocsparse_index_base_20rocsparse_diag_type_20rocsparse_direction_b,@function
_ZN9rocsparseL19bsrsv_upper_generalILj128ELj32ELb1EfEEviNS_24const_host_device_scalarIT2_EEPKiS5_PKS2_iS7_PS2_PiS9_S9_21rocsparse_index_base_20rocsparse_diag_type_20rocsparse_direction_b: ; @_ZN9rocsparseL19bsrsv_upper_generalILj128ELj32ELb1EfEEviNS_24const_host_device_scalarIT2_EEPKiS5_PKS2_iS7_PS2_PiS9_S9_21rocsparse_index_base_20rocsparse_diag_type_20rocsparse_direction_b
; %bb.0:
	s_load_dwordx4 s[16:19], s[4:5], 0x58
	s_load_dwordx2 s[20:21], s[4:5], 0x8
	s_waitcnt lgkmcnt(0)
	s_bitcmp1_b32 s19, 0
	s_cselect_b64 s[0:1], -1, 0
	s_and_b64 vcc, exec, s[0:1]
	s_cbranch_vccnz .LBB21_2
; %bb.1:
	s_load_dword s20, s[20:21], 0x0
.LBB21_2:
	s_nop 0
	s_load_dword s19, s[4:5], 0x0
	s_lshl_b32 s0, s6, 2
	v_lshrrev_b32_e32 v1, 5, v0
	s_and_b32 s0, s0, 0x7fffffc
	v_or_b32_e32 v1, s0, v1
	s_waitcnt lgkmcnt(0)
	v_cmp_gt_i32_e32 vcc, s19, v1
	s_and_saveexec_b64 s[0:1], vcc
	s_cbranch_execz .LBB21_46
; %bb.3:
	s_load_dwordx8 s[8:15], s[4:5], 0x38
	v_lshlrev_b32_e32 v1, 2, v1
	s_load_dword s33, s[4:5], 0x28
	v_and_b32_e32 v0, 31, v0
	s_waitcnt lgkmcnt(0)
	global_load_dword v1, v1, s[12:13]
	s_load_dwordx4 s[0:3], s[4:5], 0x10
	s_load_dwordx2 s[6:7], s[4:5], 0x20
	s_waitcnt lgkmcnt(0)
	v_mov_b32_e32 v5, s1
	s_waitcnt vmcnt(0)
	v_ashrrev_i32_e32 v2, 31, v1
	v_lshlrev_b64 v[2:3], 2, v[1:2]
	v_add_co_u32_e32 v4, vcc, s0, v2
	v_addc_co_u32_e32 v5, vcc, v5, v3, vcc
	global_load_dwordx2 v[4:5], v[4:5], off
	v_cmp_gt_i32_e64 s[0:1], s33, v0
	s_and_saveexec_b64 s[12:13], s[0:1]
	s_cbranch_execz .LBB21_6
; %bb.4:
	v_mad_u64_u32 v[6:7], s[22:23], v1, s33, v[0:1]
	s_load_dwordx2 s[4:5], s[4:5], 0x30
	v_mov_b32_e32 v10, s9
	v_ashrrev_i32_e32 v7, 31, v6
	v_lshlrev_b64 v[8:9], 2, v[6:7]
	s_waitcnt lgkmcnt(0)
	v_mov_b32_e32 v7, s5
	v_add_co_u32_e32 v6, vcc, s4, v8
	v_addc_co_u32_e32 v7, vcc, v7, v9, vcc
	v_add_co_u32_e32 v8, vcc, s8, v8
	v_addc_co_u32_e32 v9, vcc, v10, v9, vcc
	s_mov_b64 s[4:5], 0
	v_mov_b32_e32 v10, v0
.LBB21_5:                               ; =>This Inner Loop Header: Depth=1
	global_load_dword v11, v[6:7], off
	v_add_co_u32_e32 v6, vcc, 0x80, v6
	v_add_u32_e32 v10, 32, v10
	v_addc_co_u32_e32 v7, vcc, 0, v7, vcc
	v_cmp_le_i32_e32 vcc, s33, v10
	s_or_b64 s[4:5], vcc, s[4:5]
	s_waitcnt vmcnt(0)
	v_mul_f32_e32 v11, s20, v11
	global_store_dword v[8:9], v11, off
	v_add_co_u32_e32 v8, vcc, 0x80, v8
	v_addc_co_u32_e32 v9, vcc, 0, v9, vcc
	s_andn2_b64 exec, exec, s[4:5]
	s_cbranch_execnz .LBB21_5
.LBB21_6:
	s_or_b64 exec, exec, s[12:13]
	v_mul_lo_u32 v9, v1, s33
	s_waitcnt vmcnt(0)
	v_subrev_u32_e32 v10, s16, v4
	v_xad_u32 v4, s16, -1, v5
	v_cmp_ge_i32_e32 vcc, v4, v10
	v_mov_b32_e32 v5, s19
	s_and_saveexec_b64 s[4:5], vcc
	s_cbranch_execz .LBB21_26
; %bb.7:
	v_mad_u64_u32 v[5:6], s[12:13], s33, v4, v[0:1]
	s_cmp_lg_u32 s18, 0
	s_cselect_b64 s[12:13], -1, 0
	v_mul_lo_u32 v11, s33, v5
	s_mul_i32 s19, s33, s33
	s_lshl_b32 s34, s33, 5
	s_mov_b64 s[20:21], 0
	v_mov_b32_e32 v12, s3
                                        ; implicit-def: $sgpr22_sgpr23
	s_branch .LBB21_10
.LBB21_8:                               ;   in Loop: Header=BB21_10 Depth=1
	s_or_b64 exec, exec, s[26:27]
	v_cmp_le_i32_e32 vcc, v4, v10
	v_add_u32_e32 v6, -1, v4
	s_andn2_b64 s[22:23], s[22:23], exec
	s_and_b64 s[26:27], vcc, exec
	v_subrev_u32_e32 v11, s19, v11
	s_or_b64 s[22:23], s[22:23], s[26:27]
	v_mov_b32_e32 v4, v6
.LBB21_9:                               ;   in Loop: Header=BB21_10 Depth=1
	s_or_b64 exec, exec, s[24:25]
	s_and_b64 s[24:25], exec, s[22:23]
	s_or_b64 s[20:21], s[24:25], s[20:21]
	s_andn2_b64 exec, exec, s[20:21]
	s_cbranch_execz .LBB21_25
.LBB21_10:                              ; =>This Loop Header: Depth=1
                                        ;     Child Loop BB21_14 Depth 2
                                        ;       Child Loop BB21_15 Depth 3
                                        ;     Child Loop BB21_19 Depth 2
                                        ;       Child Loop BB21_21 Depth 3
	v_ashrrev_i32_e32 v5, 31, v4
	v_lshlrev_b64 v[5:6], 2, v[4:5]
	s_or_b64 s[22:23], s[22:23], exec
	v_add_co_u32_e32 v5, vcc, s2, v5
	v_addc_co_u32_e32 v6, vcc, v12, v6, vcc
	global_load_dword v5, v[5:6], off
	s_waitcnt vmcnt(0)
	v_subrev_u32_e32 v5, s16, v5
	v_cmp_gt_i32_e32 vcc, v5, v1
	s_and_saveexec_b64 s[24:25], vcc
	s_cbranch_execz .LBB21_9
; %bb.11:                               ;   in Loop: Header=BB21_10 Depth=1
	v_ashrrev_i32_e32 v6, 31, v5
	v_lshlrev_b64 v[6:7], 2, v[5:6]
	v_mov_b32_e32 v8, s11
	v_add_co_u32_e32 v6, vcc, s10, v6
	v_addc_co_u32_e32 v7, vcc, v8, v7, vcc
	global_load_dword v8, v[6:7], off glc
	s_waitcnt vmcnt(0)
	v_cmp_eq_u32_e32 vcc, 0, v8
	s_and_saveexec_b64 s[26:27], vcc
	s_cbranch_execz .LBB21_16
; %bb.12:                               ;   in Loop: Header=BB21_10 Depth=1
	s_mov_b32 s3, 0
	s_mov_b64 s[28:29], 0
	s_branch .LBB21_14
.LBB21_13:                              ;   in Loop: Header=BB21_14 Depth=2
	global_load_dword v8, v[6:7], off glc
	s_cmpk_lt_u32 s3, 0xf43
	s_cselect_b64 s[30:31], -1, 0
	s_cmp_lg_u64 s[30:31], 0
	s_addc_u32 s3, s3, 0
	s_waitcnt vmcnt(0)
	v_cmp_ne_u32_e32 vcc, 0, v8
	s_or_b64 s[28:29], vcc, s[28:29]
	s_andn2_b64 exec, exec, s[28:29]
	s_cbranch_execz .LBB21_16
.LBB21_14:                              ;   Parent Loop BB21_10 Depth=1
                                        ; =>  This Loop Header: Depth=2
                                        ;       Child Loop BB21_15 Depth 3
	s_cmp_eq_u32 s3, 0
	s_mov_b32 s30, s3
	s_cbranch_scc1 .LBB21_13
.LBB21_15:                              ;   Parent Loop BB21_10 Depth=1
                                        ;     Parent Loop BB21_14 Depth=2
                                        ; =>    This Inner Loop Header: Depth=3
	s_add_i32 s30, s30, -1
	s_cmp_eq_u32 s30, 0
	s_sleep 1
	s_cbranch_scc0 .LBB21_15
	s_branch .LBB21_13
.LBB21_16:                              ;   in Loop: Header=BB21_10 Depth=1
	s_or_b64 exec, exec, s[26:27]
	buffer_wbinvl1_vol
	s_and_saveexec_b64 s[26:27], s[0:1]
	s_cbranch_execz .LBB21_8
; %bb.17:                               ;   in Loop: Header=BB21_10 Depth=1
	v_mul_lo_u32 v13, v4, s33
	v_mul_lo_u32 v14, v5, s33
	s_mov_b64 s[28:29], 0
	v_mov_b32_e32 v15, v11
	v_mov_b32_e32 v6, v0
	s_branch .LBB21_19
.LBB21_18:                              ;   in Loop: Header=BB21_19 Depth=2
	v_add_u32_e32 v7, v6, v9
	v_ashrrev_i32_e32 v8, 31, v7
	v_lshlrev_b64 v[7:8], 2, v[7:8]
	v_mov_b32_e32 v17, s9
	v_add_co_u32_e32 v7, vcc, s8, v7
	v_addc_co_u32_e32 v8, vcc, v17, v8, vcc
	global_load_dword v17, v[7:8], off
	v_add_u32_e32 v6, 32, v6
	v_cmp_le_i32_e32 vcc, s33, v6
	s_or_b64 s[28:29], vcc, s[28:29]
	v_add_u32_e32 v15, s34, v15
	s_waitcnt vmcnt(0)
	v_sub_f32_e32 v16, v17, v16
	global_store_dword v[7:8], v16, off
	s_andn2_b64 exec, exec, s[28:29]
	s_cbranch_execz .LBB21_8
.LBB21_19:                              ;   Parent Loop BB21_10 Depth=1
                                        ; =>  This Loop Header: Depth=2
                                        ;       Child Loop BB21_21 Depth 3
	v_mov_b32_e32 v16, 0
	s_mov_b32 s3, 0
	s_branch .LBB21_21
.LBB21_20:                              ;   in Loop: Header=BB21_21 Depth=3
	v_ashrrev_i32_e32 v8, 31, v7
	v_lshlrev_b64 v[7:8], 2, v[7:8]
	v_mov_b32_e32 v17, s7
	v_add_co_u32_e32 v7, vcc, s6, v7
	v_addc_co_u32_e32 v8, vcc, v17, v8, vcc
	global_load_dword v17, v[7:8], off
	v_add_u32_e32 v7, s3, v14
	v_ashrrev_i32_e32 v8, 31, v7
	v_lshlrev_b64 v[7:8], 2, v[7:8]
	v_mov_b32_e32 v18, s9
	v_add_co_u32_e32 v7, vcc, s8, v7
	v_addc_co_u32_e32 v8, vcc, v18, v8, vcc
	global_load_dword v7, v[7:8], off
	s_add_i32 s3, s3, 1
	s_cmp_eq_u32 s33, s3
	s_waitcnt vmcnt(0)
	v_fmac_f32_e32 v16, v17, v7
	s_cbranch_scc1 .LBB21_18
.LBB21_21:                              ;   Parent Loop BB21_10 Depth=1
                                        ;     Parent Loop BB21_19 Depth=2
                                        ; =>    This Inner Loop Header: Depth=3
	s_and_b64 vcc, exec, s[12:13]
	s_cbranch_vccz .LBB21_23
; %bb.22:                               ;   in Loop: Header=BB21_21 Depth=3
	v_add_u32_e32 v7, s3, v13
	v_mad_u64_u32 v[7:8], s[30:31], v7, s33, v[6:7]
	s_cbranch_execnz .LBB21_20
	s_branch .LBB21_24
.LBB21_23:                              ;   in Loop: Header=BB21_21 Depth=3
                                        ; implicit-def: $vgpr7
.LBB21_24:                              ;   in Loop: Header=BB21_21 Depth=3
	v_add_u32_e32 v7, s3, v15
	s_branch .LBB21_20
.LBB21_25:
	s_or_b64 exec, exec, s[20:21]
.LBB21_26:
	s_or_b64 exec, exec, s[4:5]
	s_cmp_gt_i32 s33, 0
	v_cmp_eq_u32_e32 vcc, v5, v1
	s_cselect_b64 s[0:1], -1, 0
	s_and_b64 s[4:5], s[0:1], vcc
	s_mov_b64 s[0:1], 0
	s_and_saveexec_b64 s[2:3], s[4:5]
	s_cbranch_execz .LBB21_40
; %bb.27:
	v_mul_lo_u32 v6, v4, s33
	s_cmp_eq_u32 s17, 0
	s_cselect_b64 s[0:1], -1, 0
	s_cmp_lg_u32 s18, 0
	v_add_u32_e32 v4, v6, v0
	v_mul_lo_u32 v4, s33, v4
	v_ashrrev_i32_e32 v7, 31, v9
	s_cselect_b64 s[4:5], -1, 0
	s_lshl_b32 s17, s33, 5
	v_add3_u32 v8, v4, s33, -1
	v_cndmask_b32_e64 v4, 0, 1, s[0:1]
	s_mov_b64 s[18:19], 0
	v_cmp_ne_u32_e64 s[0:1], 1, v4
	v_mov_b32_e32 v10, s9
                                        ; implicit-def: $sgpr12_sgpr13
	s_mov_b32 s22, s33
	s_add_i32 s23, s22, -1
	s_and_b64 vcc, exec, s[0:1]
	v_mov_b32_e32 v12, 1.0
	s_cbranch_vccnz .LBB21_29
.LBB21_28:
	v_add_u32_e32 v4, s23, v6
	v_mul_lo_u32 v4, v4, s33
	s_waitcnt vmcnt(0)
	v_mov_b32_e32 v11, s7
	v_add_u32_e32 v4, s23, v4
	v_ashrrev_i32_e32 v5, 31, v4
	v_lshlrev_b64 v[4:5], 2, v[4:5]
	v_add_co_u32_e32 v4, vcc, s6, v4
	v_addc_co_u32_e32 v5, vcc, v11, v5, vcc
	global_load_dword v12, v[4:5], off
.LBB21_29:                              ; =>This Loop Header: Depth=1
                                        ;     Child Loop BB21_34 Depth 2
	s_ashr_i32 s20, s22, 31
	v_mov_b32_e32 v5, s20
	v_add_co_u32_e32 v4, vcc, s22, v9
	v_addc_co_u32_e32 v5, vcc, v5, v7, vcc
	v_lshlrev_b64 v[4:5], 2, v[4:5]
	s_or_b64 s[12:13], s[12:13], exec
	v_add_co_u32_e32 v4, vcc, s8, v4
	v_addc_co_u32_e32 v5, vcc, v10, v5, vcc
	global_load_dword v11, v[4:5], off offset:-4
	s_waitcnt vmcnt(1)
	v_cmp_neq_f32_e32 vcc, 0, v12
	s_and_saveexec_b64 s[20:21], vcc
	s_cbranch_execz .LBB21_31
; %bb.30:                               ;   in Loop: Header=BB21_29 Depth=1
	s_waitcnt vmcnt(0)
	v_div_scale_f32 v13, s[24:25], v12, v12, v11
	v_div_scale_f32 v14, vcc, v11, v12, v11
	s_andn2_b64 s[12:13], s[12:13], exec
	s_and_b64 s[18:19], s[18:19], exec
	s_or_b64 s[12:13], s[12:13], s[18:19]
	v_rcp_f32_e32 v15, v13
	v_fma_f32 v16, -v13, v15, 1.0
	v_fmac_f32_e32 v15, v16, v15
	v_mul_f32_e32 v16, v14, v15
	v_fma_f32 v17, -v13, v16, v14
	v_fmac_f32_e32 v16, v17, v15
	v_fma_f32 v13, -v13, v16, v14
	v_div_fmas_f32 v13, v13, v15, v16
	v_div_fixup_f32 v11, v13, v12, v11
	global_store_dword v[4:5], v11, off offset:-4
.LBB21_31:                              ;   in Loop: Header=BB21_29 Depth=1
	s_or_b64 exec, exec, s[20:21]
	v_cmp_gt_i32_e32 vcc, s23, v0
	s_and_saveexec_b64 s[18:19], vcc
	s_cbranch_execz .LBB21_36
; %bb.32:                               ;   in Loop: Header=BB21_29 Depth=1
	v_add_u32_e32 v4, s23, v6
	v_mul_lo_u32 v12, v4, s33
	s_mov_b64 s[20:21], 0
	v_mov_b32_e32 v13, v8
	v_mov_b32_e32 v14, v0
	s_branch .LBB21_34
.LBB21_33:                              ;   in Loop: Header=BB21_34 Depth=2
	v_ashrrev_i32_e32 v5, 31, v4
	v_lshlrev_b64 v[4:5], 2, v[4:5]
	v_mov_b32_e32 v15, s7
	v_add_co_u32_e32 v4, vcc, s6, v4
	v_addc_co_u32_e32 v5, vcc, v15, v5, vcc
	global_load_dword v15, v[4:5], off
	v_add_u32_e32 v4, v9, v14
	v_ashrrev_i32_e32 v5, 31, v4
	v_lshlrev_b64 v[4:5], 2, v[4:5]
	v_mov_b32_e32 v16, s9
	v_add_co_u32_e32 v4, vcc, s8, v4
	v_addc_co_u32_e32 v5, vcc, v16, v5, vcc
	global_load_dword v16, v[4:5], off
	v_add_u32_e32 v14, 32, v14
	v_cmp_le_i32_e32 vcc, s23, v14
	s_or_b64 s[20:21], vcc, s[20:21]
	v_add_u32_e32 v13, s17, v13
	s_waitcnt vmcnt(0)
	v_fma_f32 v15, -v11, v15, v16
	global_store_dword v[4:5], v15, off
	s_andn2_b64 exec, exec, s[20:21]
	s_cbranch_execz .LBB21_36
.LBB21_34:                              ;   Parent Loop BB21_29 Depth=1
                                        ; =>  This Inner Loop Header: Depth=2
	s_andn2_b64 vcc, exec, s[4:5]
	v_mov_b32_e32 v4, v13
	s_cbranch_vccnz .LBB21_33
; %bb.35:                               ;   in Loop: Header=BB21_34 Depth=2
	v_add_u32_e32 v4, v14, v12
	s_branch .LBB21_33
.LBB21_36:                              ;   in Loop: Header=BB21_29 Depth=1
	s_or_b64 exec, exec, s[18:19]
; %bb.37:                               ;   in Loop: Header=BB21_29 Depth=1
	s_cmp_lt_i32 s22, 2
	v_add_u32_e32 v8, -1, v8
	s_cbranch_scc1 .LBB21_39
; %bb.38:                               ;   in Loop: Header=BB21_29 Depth=1
	s_mov_b64 s[18:19], s[12:13]
	s_mov_b32 s22, s23
	s_add_i32 s23, s22, -1
	s_and_b64 vcc, exec, s[0:1]
	v_mov_b32_e32 v12, 1.0
	s_cbranch_vccnz .LBB21_29
	s_branch .LBB21_28
.LBB21_39:
	s_and_b64 s[0:1], s[12:13], exec
.LBB21_40:
	s_or_b64 exec, exec, s[2:3]
	v_cmp_eq_u32_e32 vcc, 0, v0
	s_and_b64 exec, exec, vcc
	s_cbranch_execz .LBB21_46
; %bb.41:
	v_mov_b32_e32 v0, s11
	v_add_co_u32_e32 v2, vcc, s10, v2
	v_addc_co_u32_e32 v3, vcc, v0, v3, vcc
	v_mov_b32_e32 v0, 1
	s_waitcnt vmcnt(0)
	global_store_dword v[2:3], v0, off
	s_and_b64 exec, exec, s[0:1]
	s_cbranch_execz .LBB21_46
; %bb.42:
	s_mov_b64 s[0:1], exec
	v_add_u32_e32 v0, s16, v1
	s_brev_b32 s2, -2
.LBB21_43:                              ; =>This Inner Loop Header: Depth=1
	s_ff1_i32_b64 s3, s[0:1]
	v_readlane_b32 s6, v0, s3
	s_lshl_b64 s[4:5], 1, s3
	s_min_i32 s2, s2, s6
	s_andn2_b64 s[0:1], s[0:1], s[4:5]
	s_cmp_lg_u64 s[0:1], 0
	s_cbranch_scc1 .LBB21_43
; %bb.44:
	v_mbcnt_lo_u32_b32 v0, exec_lo, 0
	v_mbcnt_hi_u32_b32 v0, exec_hi, v0
	v_cmp_eq_u32_e32 vcc, 0, v0
	s_and_saveexec_b64 s[0:1], vcc
	s_xor_b64 s[0:1], exec, s[0:1]
	s_cbranch_execz .LBB21_46
; %bb.45:
	v_mov_b32_e32 v0, 0
	v_mov_b32_e32 v1, s2
	global_atomic_smin v0, v1, s[14:15]
.LBB21_46:
	s_endpgm
	.section	.rodata,"a",@progbits
	.p2align	6, 0x0
	.amdhsa_kernel _ZN9rocsparseL19bsrsv_upper_generalILj128ELj32ELb1EfEEviNS_24const_host_device_scalarIT2_EEPKiS5_PKS2_iS7_PS2_PiS9_S9_21rocsparse_index_base_20rocsparse_diag_type_20rocsparse_direction_b
		.amdhsa_group_segment_fixed_size 0
		.amdhsa_private_segment_fixed_size 0
		.amdhsa_kernarg_size 104
		.amdhsa_user_sgpr_count 6
		.amdhsa_user_sgpr_private_segment_buffer 1
		.amdhsa_user_sgpr_dispatch_ptr 0
		.amdhsa_user_sgpr_queue_ptr 0
		.amdhsa_user_sgpr_kernarg_segment_ptr 1
		.amdhsa_user_sgpr_dispatch_id 0
		.amdhsa_user_sgpr_flat_scratch_init 0
		.amdhsa_user_sgpr_private_segment_size 0
		.amdhsa_uses_dynamic_stack 0
		.amdhsa_system_sgpr_private_segment_wavefront_offset 0
		.amdhsa_system_sgpr_workgroup_id_x 1
		.amdhsa_system_sgpr_workgroup_id_y 0
		.amdhsa_system_sgpr_workgroup_id_z 0
		.amdhsa_system_sgpr_workgroup_info 0
		.amdhsa_system_vgpr_workitem_id 0
		.amdhsa_next_free_vgpr 19
		.amdhsa_next_free_sgpr 35
		.amdhsa_reserve_vcc 1
		.amdhsa_reserve_flat_scratch 0
		.amdhsa_float_round_mode_32 0
		.amdhsa_float_round_mode_16_64 0
		.amdhsa_float_denorm_mode_32 3
		.amdhsa_float_denorm_mode_16_64 3
		.amdhsa_dx10_clamp 1
		.amdhsa_ieee_mode 1
		.amdhsa_fp16_overflow 0
		.amdhsa_exception_fp_ieee_invalid_op 0
		.amdhsa_exception_fp_denorm_src 0
		.amdhsa_exception_fp_ieee_div_zero 0
		.amdhsa_exception_fp_ieee_overflow 0
		.amdhsa_exception_fp_ieee_underflow 0
		.amdhsa_exception_fp_ieee_inexact 0
		.amdhsa_exception_int_div_zero 0
	.end_amdhsa_kernel
	.section	.text._ZN9rocsparseL19bsrsv_upper_generalILj128ELj32ELb1EfEEviNS_24const_host_device_scalarIT2_EEPKiS5_PKS2_iS7_PS2_PiS9_S9_21rocsparse_index_base_20rocsparse_diag_type_20rocsparse_direction_b,"axG",@progbits,_ZN9rocsparseL19bsrsv_upper_generalILj128ELj32ELb1EfEEviNS_24const_host_device_scalarIT2_EEPKiS5_PKS2_iS7_PS2_PiS9_S9_21rocsparse_index_base_20rocsparse_diag_type_20rocsparse_direction_b,comdat
.Lfunc_end21:
	.size	_ZN9rocsparseL19bsrsv_upper_generalILj128ELj32ELb1EfEEviNS_24const_host_device_scalarIT2_EEPKiS5_PKS2_iS7_PS2_PiS9_S9_21rocsparse_index_base_20rocsparse_diag_type_20rocsparse_direction_b, .Lfunc_end21-_ZN9rocsparseL19bsrsv_upper_generalILj128ELj32ELb1EfEEviNS_24const_host_device_scalarIT2_EEPKiS5_PKS2_iS7_PS2_PiS9_S9_21rocsparse_index_base_20rocsparse_diag_type_20rocsparse_direction_b
                                        ; -- End function
	.set _ZN9rocsparseL19bsrsv_upper_generalILj128ELj32ELb1EfEEviNS_24const_host_device_scalarIT2_EEPKiS5_PKS2_iS7_PS2_PiS9_S9_21rocsparse_index_base_20rocsparse_diag_type_20rocsparse_direction_b.num_vgpr, 19
	.set _ZN9rocsparseL19bsrsv_upper_generalILj128ELj32ELb1EfEEviNS_24const_host_device_scalarIT2_EEPKiS5_PKS2_iS7_PS2_PiS9_S9_21rocsparse_index_base_20rocsparse_diag_type_20rocsparse_direction_b.num_agpr, 0
	.set _ZN9rocsparseL19bsrsv_upper_generalILj128ELj32ELb1EfEEviNS_24const_host_device_scalarIT2_EEPKiS5_PKS2_iS7_PS2_PiS9_S9_21rocsparse_index_base_20rocsparse_diag_type_20rocsparse_direction_b.numbered_sgpr, 35
	.set _ZN9rocsparseL19bsrsv_upper_generalILj128ELj32ELb1EfEEviNS_24const_host_device_scalarIT2_EEPKiS5_PKS2_iS7_PS2_PiS9_S9_21rocsparse_index_base_20rocsparse_diag_type_20rocsparse_direction_b.num_named_barrier, 0
	.set _ZN9rocsparseL19bsrsv_upper_generalILj128ELj32ELb1EfEEviNS_24const_host_device_scalarIT2_EEPKiS5_PKS2_iS7_PS2_PiS9_S9_21rocsparse_index_base_20rocsparse_diag_type_20rocsparse_direction_b.private_seg_size, 0
	.set _ZN9rocsparseL19bsrsv_upper_generalILj128ELj32ELb1EfEEviNS_24const_host_device_scalarIT2_EEPKiS5_PKS2_iS7_PS2_PiS9_S9_21rocsparse_index_base_20rocsparse_diag_type_20rocsparse_direction_b.uses_vcc, 1
	.set _ZN9rocsparseL19bsrsv_upper_generalILj128ELj32ELb1EfEEviNS_24const_host_device_scalarIT2_EEPKiS5_PKS2_iS7_PS2_PiS9_S9_21rocsparse_index_base_20rocsparse_diag_type_20rocsparse_direction_b.uses_flat_scratch, 0
	.set _ZN9rocsparseL19bsrsv_upper_generalILj128ELj32ELb1EfEEviNS_24const_host_device_scalarIT2_EEPKiS5_PKS2_iS7_PS2_PiS9_S9_21rocsparse_index_base_20rocsparse_diag_type_20rocsparse_direction_b.has_dyn_sized_stack, 0
	.set _ZN9rocsparseL19bsrsv_upper_generalILj128ELj32ELb1EfEEviNS_24const_host_device_scalarIT2_EEPKiS5_PKS2_iS7_PS2_PiS9_S9_21rocsparse_index_base_20rocsparse_diag_type_20rocsparse_direction_b.has_recursion, 0
	.set _ZN9rocsparseL19bsrsv_upper_generalILj128ELj32ELb1EfEEviNS_24const_host_device_scalarIT2_EEPKiS5_PKS2_iS7_PS2_PiS9_S9_21rocsparse_index_base_20rocsparse_diag_type_20rocsparse_direction_b.has_indirect_call, 0
	.section	.AMDGPU.csdata,"",@progbits
; Kernel info:
; codeLenInByte = 1636
; TotalNumSgprs: 39
; NumVgprs: 19
; ScratchSize: 0
; MemoryBound: 0
; FloatMode: 240
; IeeeMode: 1
; LDSByteSize: 0 bytes/workgroup (compile time only)
; SGPRBlocks: 4
; VGPRBlocks: 4
; NumSGPRsForWavesPerEU: 39
; NumVGPRsForWavesPerEU: 19
; Occupancy: 10
; WaveLimiterHint : 1
; COMPUTE_PGM_RSRC2:SCRATCH_EN: 0
; COMPUTE_PGM_RSRC2:USER_SGPR: 6
; COMPUTE_PGM_RSRC2:TRAP_HANDLER: 0
; COMPUTE_PGM_RSRC2:TGID_X_EN: 1
; COMPUTE_PGM_RSRC2:TGID_Y_EN: 0
; COMPUTE_PGM_RSRC2:TGID_Z_EN: 0
; COMPUTE_PGM_RSRC2:TIDIG_COMP_CNT: 0
	.section	.text._ZN9rocsparseL19bsrsv_upper_generalILj128ELj32ELb0EfEEviNS_24const_host_device_scalarIT2_EEPKiS5_PKS2_iS7_PS2_PiS9_S9_21rocsparse_index_base_20rocsparse_diag_type_20rocsparse_direction_b,"axG",@progbits,_ZN9rocsparseL19bsrsv_upper_generalILj128ELj32ELb0EfEEviNS_24const_host_device_scalarIT2_EEPKiS5_PKS2_iS7_PS2_PiS9_S9_21rocsparse_index_base_20rocsparse_diag_type_20rocsparse_direction_b,comdat
	.globl	_ZN9rocsparseL19bsrsv_upper_generalILj128ELj32ELb0EfEEviNS_24const_host_device_scalarIT2_EEPKiS5_PKS2_iS7_PS2_PiS9_S9_21rocsparse_index_base_20rocsparse_diag_type_20rocsparse_direction_b ; -- Begin function _ZN9rocsparseL19bsrsv_upper_generalILj128ELj32ELb0EfEEviNS_24const_host_device_scalarIT2_EEPKiS5_PKS2_iS7_PS2_PiS9_S9_21rocsparse_index_base_20rocsparse_diag_type_20rocsparse_direction_b
	.p2align	8
	.type	_ZN9rocsparseL19bsrsv_upper_generalILj128ELj32ELb0EfEEviNS_24const_host_device_scalarIT2_EEPKiS5_PKS2_iS7_PS2_PiS9_S9_21rocsparse_index_base_20rocsparse_diag_type_20rocsparse_direction_b,@function
_ZN9rocsparseL19bsrsv_upper_generalILj128ELj32ELb0EfEEviNS_24const_host_device_scalarIT2_EEPKiS5_PKS2_iS7_PS2_PiS9_S9_21rocsparse_index_base_20rocsparse_diag_type_20rocsparse_direction_b: ; @_ZN9rocsparseL19bsrsv_upper_generalILj128ELj32ELb0EfEEviNS_24const_host_device_scalarIT2_EEPKiS5_PKS2_iS7_PS2_PiS9_S9_21rocsparse_index_base_20rocsparse_diag_type_20rocsparse_direction_b
; %bb.0:
	s_load_dwordx4 s[16:19], s[4:5], 0x58
	s_load_dwordx2 s[20:21], s[4:5], 0x8
	s_waitcnt lgkmcnt(0)
	s_bitcmp1_b32 s19, 0
	s_cselect_b64 s[0:1], -1, 0
	s_and_b64 vcc, exec, s[0:1]
	s_cbranch_vccnz .LBB22_2
; %bb.1:
	s_load_dword s20, s[20:21], 0x0
.LBB22_2:
	s_nop 0
	s_load_dword s19, s[4:5], 0x0
	s_lshl_b32 s0, s6, 2
	v_lshrrev_b32_e32 v1, 5, v0
	s_and_b32 s0, s0, 0x7fffffc
	v_or_b32_e32 v1, s0, v1
	s_waitcnt lgkmcnt(0)
	v_cmp_gt_i32_e32 vcc, s19, v1
	s_and_saveexec_b64 s[0:1], vcc
	s_cbranch_execz .LBB22_44
; %bb.3:
	s_load_dwordx8 s[8:15], s[4:5], 0x38
	v_lshlrev_b32_e32 v1, 2, v1
	s_load_dword s33, s[4:5], 0x28
	v_and_b32_e32 v0, 31, v0
	s_waitcnt lgkmcnt(0)
	global_load_dword v1, v1, s[12:13]
	s_load_dwordx4 s[0:3], s[4:5], 0x10
	s_load_dwordx2 s[6:7], s[4:5], 0x20
	s_waitcnt lgkmcnt(0)
	v_mov_b32_e32 v5, s1
	s_waitcnt vmcnt(0)
	v_ashrrev_i32_e32 v2, 31, v1
	v_lshlrev_b64 v[2:3], 2, v[1:2]
	v_add_co_u32_e32 v4, vcc, s0, v2
	v_addc_co_u32_e32 v5, vcc, v5, v3, vcc
	global_load_dwordx2 v[4:5], v[4:5], off
	v_cmp_gt_i32_e64 s[0:1], s33, v0
	s_and_saveexec_b64 s[12:13], s[0:1]
	s_cbranch_execz .LBB22_6
; %bb.4:
	v_mad_u64_u32 v[6:7], s[22:23], v1, s33, v[0:1]
	s_load_dwordx2 s[4:5], s[4:5], 0x30
	v_mov_b32_e32 v10, s9
	v_ashrrev_i32_e32 v7, 31, v6
	v_lshlrev_b64 v[8:9], 2, v[6:7]
	s_waitcnt lgkmcnt(0)
	v_mov_b32_e32 v7, s5
	v_add_co_u32_e32 v6, vcc, s4, v8
	v_addc_co_u32_e32 v7, vcc, v7, v9, vcc
	v_add_co_u32_e32 v8, vcc, s8, v8
	v_addc_co_u32_e32 v9, vcc, v10, v9, vcc
	s_mov_b64 s[4:5], 0
	v_mov_b32_e32 v10, v0
.LBB22_5:                               ; =>This Inner Loop Header: Depth=1
	global_load_dword v11, v[6:7], off
	v_add_co_u32_e32 v6, vcc, 0x80, v6
	v_add_u32_e32 v10, 32, v10
	v_addc_co_u32_e32 v7, vcc, 0, v7, vcc
	v_cmp_le_i32_e32 vcc, s33, v10
	s_or_b64 s[4:5], vcc, s[4:5]
	s_waitcnt vmcnt(0)
	v_mul_f32_e32 v11, s20, v11
	global_store_dword v[8:9], v11, off
	v_add_co_u32_e32 v8, vcc, 0x80, v8
	v_addc_co_u32_e32 v9, vcc, 0, v9, vcc
	s_andn2_b64 exec, exec, s[4:5]
	s_cbranch_execnz .LBB22_5
.LBB22_6:
	s_or_b64 exec, exec, s[12:13]
	v_mul_lo_u32 v9, v1, s33
	s_waitcnt vmcnt(0)
	v_subrev_u32_e32 v10, s16, v4
	v_xad_u32 v4, s16, -1, v5
	v_cmp_ge_i32_e32 vcc, v4, v10
	v_mov_b32_e32 v5, s19
	s_and_saveexec_b64 s[4:5], vcc
	s_cbranch_execz .LBB22_24
; %bb.7:
	v_mad_u64_u32 v[5:6], s[12:13], s33, v4, v[0:1]
	s_cmp_lg_u32 s18, 0
	s_cselect_b64 s[12:13], -1, 0
	v_mul_lo_u32 v11, s33, v5
	s_mul_i32 s19, s33, s33
	s_lshl_b32 s34, s33, 5
	s_mov_b64 s[20:21], 0
	v_mov_b32_e32 v12, s3
                                        ; implicit-def: $sgpr22_sgpr23
	s_branch .LBB22_10
.LBB22_8:                               ;   in Loop: Header=BB22_10 Depth=1
	s_or_b64 exec, exec, s[26:27]
	v_cmp_le_i32_e32 vcc, v4, v10
	v_add_u32_e32 v6, -1, v4
	s_andn2_b64 s[22:23], s[22:23], exec
	s_and_b64 s[26:27], vcc, exec
	v_subrev_u32_e32 v11, s19, v11
	s_or_b64 s[22:23], s[22:23], s[26:27]
	v_mov_b32_e32 v4, v6
.LBB22_9:                               ;   in Loop: Header=BB22_10 Depth=1
	s_or_b64 exec, exec, s[24:25]
	s_and_b64 s[24:25], exec, s[22:23]
	s_or_b64 s[20:21], s[24:25], s[20:21]
	s_andn2_b64 exec, exec, s[20:21]
	s_cbranch_execz .LBB22_23
.LBB22_10:                              ; =>This Loop Header: Depth=1
                                        ;     Child Loop BB22_13 Depth 2
                                        ;     Child Loop BB22_17 Depth 2
                                        ;       Child Loop BB22_19 Depth 3
	v_ashrrev_i32_e32 v5, 31, v4
	v_lshlrev_b64 v[5:6], 2, v[4:5]
	s_or_b64 s[22:23], s[22:23], exec
	v_add_co_u32_e32 v5, vcc, s2, v5
	v_addc_co_u32_e32 v6, vcc, v12, v6, vcc
	global_load_dword v5, v[5:6], off
	s_waitcnt vmcnt(0)
	v_subrev_u32_e32 v5, s16, v5
	v_cmp_gt_i32_e32 vcc, v5, v1
	s_and_saveexec_b64 s[24:25], vcc
	s_cbranch_execz .LBB22_9
; %bb.11:                               ;   in Loop: Header=BB22_10 Depth=1
	v_ashrrev_i32_e32 v6, 31, v5
	v_lshlrev_b64 v[6:7], 2, v[5:6]
	v_mov_b32_e32 v8, s11
	v_add_co_u32_e32 v6, vcc, s10, v6
	v_addc_co_u32_e32 v7, vcc, v8, v7, vcc
	global_load_dword v8, v[6:7], off glc
	s_waitcnt vmcnt(0)
	v_cmp_eq_u32_e32 vcc, 0, v8
	s_and_saveexec_b64 s[26:27], vcc
	s_cbranch_execz .LBB22_14
; %bb.12:                               ;   in Loop: Header=BB22_10 Depth=1
	s_mov_b64 s[28:29], 0
.LBB22_13:                              ;   Parent Loop BB22_10 Depth=1
                                        ; =>  This Inner Loop Header: Depth=2
	global_load_dword v8, v[6:7], off glc
	s_waitcnt vmcnt(0)
	v_cmp_ne_u32_e32 vcc, 0, v8
	s_or_b64 s[28:29], vcc, s[28:29]
	s_andn2_b64 exec, exec, s[28:29]
	s_cbranch_execnz .LBB22_13
.LBB22_14:                              ;   in Loop: Header=BB22_10 Depth=1
	s_or_b64 exec, exec, s[26:27]
	buffer_wbinvl1_vol
	s_and_saveexec_b64 s[26:27], s[0:1]
	s_cbranch_execz .LBB22_8
; %bb.15:                               ;   in Loop: Header=BB22_10 Depth=1
	v_mul_lo_u32 v13, v4, s33
	v_mul_lo_u32 v14, v5, s33
	s_mov_b64 s[28:29], 0
	v_mov_b32_e32 v15, v11
	v_mov_b32_e32 v6, v0
	s_branch .LBB22_17
.LBB22_16:                              ;   in Loop: Header=BB22_17 Depth=2
	v_add_u32_e32 v7, v6, v9
	v_ashrrev_i32_e32 v8, 31, v7
	v_lshlrev_b64 v[7:8], 2, v[7:8]
	v_mov_b32_e32 v17, s9
	v_add_co_u32_e32 v7, vcc, s8, v7
	v_addc_co_u32_e32 v8, vcc, v17, v8, vcc
	global_load_dword v17, v[7:8], off
	v_add_u32_e32 v6, 32, v6
	v_cmp_le_i32_e32 vcc, s33, v6
	s_or_b64 s[28:29], vcc, s[28:29]
	v_add_u32_e32 v15, s34, v15
	s_waitcnt vmcnt(0)
	v_sub_f32_e32 v16, v17, v16
	global_store_dword v[7:8], v16, off
	s_andn2_b64 exec, exec, s[28:29]
	s_cbranch_execz .LBB22_8
.LBB22_17:                              ;   Parent Loop BB22_10 Depth=1
                                        ; =>  This Loop Header: Depth=2
                                        ;       Child Loop BB22_19 Depth 3
	v_mov_b32_e32 v16, 0
	s_mov_b32 s3, 0
	s_branch .LBB22_19
.LBB22_18:                              ;   in Loop: Header=BB22_19 Depth=3
	v_ashrrev_i32_e32 v8, 31, v7
	v_lshlrev_b64 v[7:8], 2, v[7:8]
	v_mov_b32_e32 v17, s7
	v_add_co_u32_e32 v7, vcc, s6, v7
	v_addc_co_u32_e32 v8, vcc, v17, v8, vcc
	global_load_dword v17, v[7:8], off
	v_add_u32_e32 v7, s3, v14
	v_ashrrev_i32_e32 v8, 31, v7
	v_lshlrev_b64 v[7:8], 2, v[7:8]
	v_mov_b32_e32 v18, s9
	v_add_co_u32_e32 v7, vcc, s8, v7
	v_addc_co_u32_e32 v8, vcc, v18, v8, vcc
	global_load_dword v7, v[7:8], off
	s_add_i32 s3, s3, 1
	s_cmp_eq_u32 s33, s3
	s_waitcnt vmcnt(0)
	v_fmac_f32_e32 v16, v17, v7
	s_cbranch_scc1 .LBB22_16
.LBB22_19:                              ;   Parent Loop BB22_10 Depth=1
                                        ;     Parent Loop BB22_17 Depth=2
                                        ; =>    This Inner Loop Header: Depth=3
	s_and_b64 vcc, exec, s[12:13]
	s_cbranch_vccz .LBB22_21
; %bb.20:                               ;   in Loop: Header=BB22_19 Depth=3
	v_add_u32_e32 v7, s3, v13
	v_mad_u64_u32 v[7:8], s[30:31], v7, s33, v[6:7]
	s_cbranch_execnz .LBB22_18
	s_branch .LBB22_22
.LBB22_21:                              ;   in Loop: Header=BB22_19 Depth=3
                                        ; implicit-def: $vgpr7
.LBB22_22:                              ;   in Loop: Header=BB22_19 Depth=3
	v_add_u32_e32 v7, s3, v15
	s_branch .LBB22_18
.LBB22_23:
	s_or_b64 exec, exec, s[20:21]
.LBB22_24:
	s_or_b64 exec, exec, s[4:5]
	s_cmp_gt_i32 s33, 0
	v_cmp_eq_u32_e32 vcc, v5, v1
	s_cselect_b64 s[0:1], -1, 0
	s_and_b64 s[4:5], s[0:1], vcc
	s_mov_b64 s[0:1], 0
	s_and_saveexec_b64 s[2:3], s[4:5]
	s_cbranch_execz .LBB22_38
; %bb.25:
	v_mul_lo_u32 v6, v4, s33
	s_cmp_eq_u32 s17, 0
	s_cselect_b64 s[0:1], -1, 0
	s_cmp_lg_u32 s18, 0
	v_add_u32_e32 v4, v6, v0
	v_mul_lo_u32 v4, s33, v4
	v_ashrrev_i32_e32 v7, 31, v9
	s_cselect_b64 s[4:5], -1, 0
	s_lshl_b32 s17, s33, 5
	v_add3_u32 v8, v4, s33, -1
	v_cndmask_b32_e64 v4, 0, 1, s[0:1]
	s_mov_b64 s[18:19], 0
	v_cmp_ne_u32_e64 s[0:1], 1, v4
	v_mov_b32_e32 v10, s9
                                        ; implicit-def: $sgpr12_sgpr13
	s_mov_b32 s22, s33
	s_add_i32 s23, s22, -1
	s_and_b64 vcc, exec, s[0:1]
	v_mov_b32_e32 v12, 1.0
	s_cbranch_vccnz .LBB22_27
.LBB22_26:
	v_add_u32_e32 v4, s23, v6
	v_mul_lo_u32 v4, v4, s33
	s_waitcnt vmcnt(0)
	v_mov_b32_e32 v11, s7
	v_add_u32_e32 v4, s23, v4
	v_ashrrev_i32_e32 v5, 31, v4
	v_lshlrev_b64 v[4:5], 2, v[4:5]
	v_add_co_u32_e32 v4, vcc, s6, v4
	v_addc_co_u32_e32 v5, vcc, v11, v5, vcc
	global_load_dword v12, v[4:5], off
.LBB22_27:                              ; =>This Loop Header: Depth=1
                                        ;     Child Loop BB22_32 Depth 2
	s_ashr_i32 s20, s22, 31
	v_mov_b32_e32 v5, s20
	v_add_co_u32_e32 v4, vcc, s22, v9
	v_addc_co_u32_e32 v5, vcc, v5, v7, vcc
	v_lshlrev_b64 v[4:5], 2, v[4:5]
	s_or_b64 s[12:13], s[12:13], exec
	v_add_co_u32_e32 v4, vcc, s8, v4
	v_addc_co_u32_e32 v5, vcc, v10, v5, vcc
	global_load_dword v11, v[4:5], off offset:-4
	s_waitcnt vmcnt(1)
	v_cmp_neq_f32_e32 vcc, 0, v12
	s_and_saveexec_b64 s[20:21], vcc
	s_cbranch_execz .LBB22_29
; %bb.28:                               ;   in Loop: Header=BB22_27 Depth=1
	s_waitcnt vmcnt(0)
	v_div_scale_f32 v13, s[24:25], v12, v12, v11
	v_div_scale_f32 v14, vcc, v11, v12, v11
	s_andn2_b64 s[12:13], s[12:13], exec
	s_and_b64 s[18:19], s[18:19], exec
	s_or_b64 s[12:13], s[12:13], s[18:19]
	v_rcp_f32_e32 v15, v13
	v_fma_f32 v16, -v13, v15, 1.0
	v_fmac_f32_e32 v15, v16, v15
	v_mul_f32_e32 v16, v14, v15
	v_fma_f32 v17, -v13, v16, v14
	v_fmac_f32_e32 v16, v17, v15
	v_fma_f32 v13, -v13, v16, v14
	v_div_fmas_f32 v13, v13, v15, v16
	v_div_fixup_f32 v11, v13, v12, v11
	global_store_dword v[4:5], v11, off offset:-4
.LBB22_29:                              ;   in Loop: Header=BB22_27 Depth=1
	s_or_b64 exec, exec, s[20:21]
	v_cmp_gt_i32_e32 vcc, s23, v0
	s_and_saveexec_b64 s[18:19], vcc
	s_cbranch_execz .LBB22_34
; %bb.30:                               ;   in Loop: Header=BB22_27 Depth=1
	v_add_u32_e32 v4, s23, v6
	v_mul_lo_u32 v12, v4, s33
	s_mov_b64 s[20:21], 0
	v_mov_b32_e32 v13, v8
	v_mov_b32_e32 v14, v0
	s_branch .LBB22_32
.LBB22_31:                              ;   in Loop: Header=BB22_32 Depth=2
	v_ashrrev_i32_e32 v5, 31, v4
	v_lshlrev_b64 v[4:5], 2, v[4:5]
	v_mov_b32_e32 v15, s7
	v_add_co_u32_e32 v4, vcc, s6, v4
	v_addc_co_u32_e32 v5, vcc, v15, v5, vcc
	global_load_dword v15, v[4:5], off
	v_add_u32_e32 v4, v9, v14
	v_ashrrev_i32_e32 v5, 31, v4
	v_lshlrev_b64 v[4:5], 2, v[4:5]
	v_mov_b32_e32 v16, s9
	v_add_co_u32_e32 v4, vcc, s8, v4
	v_addc_co_u32_e32 v5, vcc, v16, v5, vcc
	global_load_dword v16, v[4:5], off
	v_add_u32_e32 v14, 32, v14
	v_cmp_le_i32_e32 vcc, s23, v14
	s_or_b64 s[20:21], vcc, s[20:21]
	v_add_u32_e32 v13, s17, v13
	s_waitcnt vmcnt(0)
	v_fma_f32 v15, -v11, v15, v16
	global_store_dword v[4:5], v15, off
	s_andn2_b64 exec, exec, s[20:21]
	s_cbranch_execz .LBB22_34
.LBB22_32:                              ;   Parent Loop BB22_27 Depth=1
                                        ; =>  This Inner Loop Header: Depth=2
	s_andn2_b64 vcc, exec, s[4:5]
	v_mov_b32_e32 v4, v13
	s_cbranch_vccnz .LBB22_31
; %bb.33:                               ;   in Loop: Header=BB22_32 Depth=2
	v_add_u32_e32 v4, v14, v12
	s_branch .LBB22_31
.LBB22_34:                              ;   in Loop: Header=BB22_27 Depth=1
	s_or_b64 exec, exec, s[18:19]
; %bb.35:                               ;   in Loop: Header=BB22_27 Depth=1
	s_cmp_lt_i32 s22, 2
	v_add_u32_e32 v8, -1, v8
	s_cbranch_scc1 .LBB22_37
; %bb.36:                               ;   in Loop: Header=BB22_27 Depth=1
	s_mov_b64 s[18:19], s[12:13]
	s_mov_b32 s22, s23
	s_add_i32 s23, s22, -1
	s_and_b64 vcc, exec, s[0:1]
	v_mov_b32_e32 v12, 1.0
	s_cbranch_vccnz .LBB22_27
	s_branch .LBB22_26
.LBB22_37:
	s_and_b64 s[0:1], s[12:13], exec
.LBB22_38:
	s_or_b64 exec, exec, s[2:3]
	v_cmp_eq_u32_e32 vcc, 0, v0
	s_and_b64 exec, exec, vcc
	s_cbranch_execz .LBB22_44
; %bb.39:
	v_mov_b32_e32 v0, s11
	v_add_co_u32_e32 v2, vcc, s10, v2
	v_addc_co_u32_e32 v3, vcc, v0, v3, vcc
	v_mov_b32_e32 v0, 1
	s_waitcnt vmcnt(0)
	global_store_dword v[2:3], v0, off
	s_and_b64 exec, exec, s[0:1]
	s_cbranch_execz .LBB22_44
; %bb.40:
	s_mov_b64 s[0:1], exec
	v_add_u32_e32 v0, s16, v1
	s_brev_b32 s2, -2
.LBB22_41:                              ; =>This Inner Loop Header: Depth=1
	s_ff1_i32_b64 s3, s[0:1]
	v_readlane_b32 s6, v0, s3
	s_lshl_b64 s[4:5], 1, s3
	s_min_i32 s2, s2, s6
	s_andn2_b64 s[0:1], s[0:1], s[4:5]
	s_cmp_lg_u64 s[0:1], 0
	s_cbranch_scc1 .LBB22_41
; %bb.42:
	v_mbcnt_lo_u32_b32 v0, exec_lo, 0
	v_mbcnt_hi_u32_b32 v0, exec_hi, v0
	v_cmp_eq_u32_e32 vcc, 0, v0
	s_and_saveexec_b64 s[0:1], vcc
	s_xor_b64 s[0:1], exec, s[0:1]
	s_cbranch_execz .LBB22_44
; %bb.43:
	v_mov_b32_e32 v0, 0
	v_mov_b32_e32 v1, s2
	global_atomic_smin v0, v1, s[14:15]
.LBB22_44:
	s_endpgm
	.section	.rodata,"a",@progbits
	.p2align	6, 0x0
	.amdhsa_kernel _ZN9rocsparseL19bsrsv_upper_generalILj128ELj32ELb0EfEEviNS_24const_host_device_scalarIT2_EEPKiS5_PKS2_iS7_PS2_PiS9_S9_21rocsparse_index_base_20rocsparse_diag_type_20rocsparse_direction_b
		.amdhsa_group_segment_fixed_size 0
		.amdhsa_private_segment_fixed_size 0
		.amdhsa_kernarg_size 104
		.amdhsa_user_sgpr_count 6
		.amdhsa_user_sgpr_private_segment_buffer 1
		.amdhsa_user_sgpr_dispatch_ptr 0
		.amdhsa_user_sgpr_queue_ptr 0
		.amdhsa_user_sgpr_kernarg_segment_ptr 1
		.amdhsa_user_sgpr_dispatch_id 0
		.amdhsa_user_sgpr_flat_scratch_init 0
		.amdhsa_user_sgpr_private_segment_size 0
		.amdhsa_uses_dynamic_stack 0
		.amdhsa_system_sgpr_private_segment_wavefront_offset 0
		.amdhsa_system_sgpr_workgroup_id_x 1
		.amdhsa_system_sgpr_workgroup_id_y 0
		.amdhsa_system_sgpr_workgroup_id_z 0
		.amdhsa_system_sgpr_workgroup_info 0
		.amdhsa_system_vgpr_workitem_id 0
		.amdhsa_next_free_vgpr 19
		.amdhsa_next_free_sgpr 35
		.amdhsa_reserve_vcc 1
		.amdhsa_reserve_flat_scratch 0
		.amdhsa_float_round_mode_32 0
		.amdhsa_float_round_mode_16_64 0
		.amdhsa_float_denorm_mode_32 3
		.amdhsa_float_denorm_mode_16_64 3
		.amdhsa_dx10_clamp 1
		.amdhsa_ieee_mode 1
		.amdhsa_fp16_overflow 0
		.amdhsa_exception_fp_ieee_invalid_op 0
		.amdhsa_exception_fp_denorm_src 0
		.amdhsa_exception_fp_ieee_div_zero 0
		.amdhsa_exception_fp_ieee_overflow 0
		.amdhsa_exception_fp_ieee_underflow 0
		.amdhsa_exception_fp_ieee_inexact 0
		.amdhsa_exception_int_div_zero 0
	.end_amdhsa_kernel
	.section	.text._ZN9rocsparseL19bsrsv_upper_generalILj128ELj32ELb0EfEEviNS_24const_host_device_scalarIT2_EEPKiS5_PKS2_iS7_PS2_PiS9_S9_21rocsparse_index_base_20rocsparse_diag_type_20rocsparse_direction_b,"axG",@progbits,_ZN9rocsparseL19bsrsv_upper_generalILj128ELj32ELb0EfEEviNS_24const_host_device_scalarIT2_EEPKiS5_PKS2_iS7_PS2_PiS9_S9_21rocsparse_index_base_20rocsparse_diag_type_20rocsparse_direction_b,comdat
.Lfunc_end22:
	.size	_ZN9rocsparseL19bsrsv_upper_generalILj128ELj32ELb0EfEEviNS_24const_host_device_scalarIT2_EEPKiS5_PKS2_iS7_PS2_PiS9_S9_21rocsparse_index_base_20rocsparse_diag_type_20rocsparse_direction_b, .Lfunc_end22-_ZN9rocsparseL19bsrsv_upper_generalILj128ELj32ELb0EfEEviNS_24const_host_device_scalarIT2_EEPKiS5_PKS2_iS7_PS2_PiS9_S9_21rocsparse_index_base_20rocsparse_diag_type_20rocsparse_direction_b
                                        ; -- End function
	.set _ZN9rocsparseL19bsrsv_upper_generalILj128ELj32ELb0EfEEviNS_24const_host_device_scalarIT2_EEPKiS5_PKS2_iS7_PS2_PiS9_S9_21rocsparse_index_base_20rocsparse_diag_type_20rocsparse_direction_b.num_vgpr, 19
	.set _ZN9rocsparseL19bsrsv_upper_generalILj128ELj32ELb0EfEEviNS_24const_host_device_scalarIT2_EEPKiS5_PKS2_iS7_PS2_PiS9_S9_21rocsparse_index_base_20rocsparse_diag_type_20rocsparse_direction_b.num_agpr, 0
	.set _ZN9rocsparseL19bsrsv_upper_generalILj128ELj32ELb0EfEEviNS_24const_host_device_scalarIT2_EEPKiS5_PKS2_iS7_PS2_PiS9_S9_21rocsparse_index_base_20rocsparse_diag_type_20rocsparse_direction_b.numbered_sgpr, 35
	.set _ZN9rocsparseL19bsrsv_upper_generalILj128ELj32ELb0EfEEviNS_24const_host_device_scalarIT2_EEPKiS5_PKS2_iS7_PS2_PiS9_S9_21rocsparse_index_base_20rocsparse_diag_type_20rocsparse_direction_b.num_named_barrier, 0
	.set _ZN9rocsparseL19bsrsv_upper_generalILj128ELj32ELb0EfEEviNS_24const_host_device_scalarIT2_EEPKiS5_PKS2_iS7_PS2_PiS9_S9_21rocsparse_index_base_20rocsparse_diag_type_20rocsparse_direction_b.private_seg_size, 0
	.set _ZN9rocsparseL19bsrsv_upper_generalILj128ELj32ELb0EfEEviNS_24const_host_device_scalarIT2_EEPKiS5_PKS2_iS7_PS2_PiS9_S9_21rocsparse_index_base_20rocsparse_diag_type_20rocsparse_direction_b.uses_vcc, 1
	.set _ZN9rocsparseL19bsrsv_upper_generalILj128ELj32ELb0EfEEviNS_24const_host_device_scalarIT2_EEPKiS5_PKS2_iS7_PS2_PiS9_S9_21rocsparse_index_base_20rocsparse_diag_type_20rocsparse_direction_b.uses_flat_scratch, 0
	.set _ZN9rocsparseL19bsrsv_upper_generalILj128ELj32ELb0EfEEviNS_24const_host_device_scalarIT2_EEPKiS5_PKS2_iS7_PS2_PiS9_S9_21rocsparse_index_base_20rocsparse_diag_type_20rocsparse_direction_b.has_dyn_sized_stack, 0
	.set _ZN9rocsparseL19bsrsv_upper_generalILj128ELj32ELb0EfEEviNS_24const_host_device_scalarIT2_EEPKiS5_PKS2_iS7_PS2_PiS9_S9_21rocsparse_index_base_20rocsparse_diag_type_20rocsparse_direction_b.has_recursion, 0
	.set _ZN9rocsparseL19bsrsv_upper_generalILj128ELj32ELb0EfEEviNS_24const_host_device_scalarIT2_EEPKiS5_PKS2_iS7_PS2_PiS9_S9_21rocsparse_index_base_20rocsparse_diag_type_20rocsparse_direction_b.has_indirect_call, 0
	.section	.AMDGPU.csdata,"",@progbits
; Kernel info:
; codeLenInByte = 1580
; TotalNumSgprs: 39
; NumVgprs: 19
; ScratchSize: 0
; MemoryBound: 0
; FloatMode: 240
; IeeeMode: 1
; LDSByteSize: 0 bytes/workgroup (compile time only)
; SGPRBlocks: 4
; VGPRBlocks: 4
; NumSGPRsForWavesPerEU: 39
; NumVGPRsForWavesPerEU: 19
; Occupancy: 10
; WaveLimiterHint : 1
; COMPUTE_PGM_RSRC2:SCRATCH_EN: 0
; COMPUTE_PGM_RSRC2:USER_SGPR: 6
; COMPUTE_PGM_RSRC2:TRAP_HANDLER: 0
; COMPUTE_PGM_RSRC2:TGID_X_EN: 1
; COMPUTE_PGM_RSRC2:TGID_Y_EN: 0
; COMPUTE_PGM_RSRC2:TGID_Z_EN: 0
; COMPUTE_PGM_RSRC2:TIDIG_COMP_CNT: 0
	.section	.text._ZN9rocsparseL10bsr_gatherILj4ELj64ELj2EidEEv20rocsparse_direction_T2_PKS2_PKT3_PS5_S2_,"axG",@progbits,_ZN9rocsparseL10bsr_gatherILj4ELj64ELj2EidEEv20rocsparse_direction_T2_PKS2_PKT3_PS5_S2_,comdat
	.globl	_ZN9rocsparseL10bsr_gatherILj4ELj64ELj2EidEEv20rocsparse_direction_T2_PKS2_PKT3_PS5_S2_ ; -- Begin function _ZN9rocsparseL10bsr_gatherILj4ELj64ELj2EidEEv20rocsparse_direction_T2_PKS2_PKT3_PS5_S2_
	.p2align	8
	.type	_ZN9rocsparseL10bsr_gatherILj4ELj64ELj2EidEEv20rocsparse_direction_T2_PKS2_PKT3_PS5_S2_,@function
_ZN9rocsparseL10bsr_gatherILj4ELj64ELj2EidEEv20rocsparse_direction_T2_PKS2_PKT3_PS5_S2_: ; @_ZN9rocsparseL10bsr_gatherILj4ELj64ELj2EidEEv20rocsparse_direction_T2_PKS2_PKT3_PS5_S2_
; %bb.0:
	s_load_dwordx2 s[8:9], s[4:5], 0x0
	v_lshl_add_u32 v2, s6, 6, v1
	s_waitcnt lgkmcnt(0)
	v_cmp_gt_i32_e32 vcc, s9, v2
	s_and_saveexec_b64 s[0:1], vcc
	s_cbranch_execz .LBB23_15
; %bb.1:
	s_load_dword s16, s[4:5], 0x20
	v_and_b32_e32 v1, 1, v0
	s_waitcnt lgkmcnt(0)
	v_cmp_gt_i32_e32 vcc, s16, v1
	s_and_b64 exec, exec, vcc
	s_cbranch_execz .LBB23_15
; %bb.2:
	s_load_dwordx4 s[0:3], s[4:5], 0x8
	s_load_dwordx2 s[6:7], s[4:5], 0x18
	v_ashrrev_i32_e32 v3, 31, v2
	v_lshlrev_b64 v[3:4], 2, v[2:3]
	v_mul_lo_u32 v6, s16, v2
	s_waitcnt lgkmcnt(0)
	v_mov_b32_e32 v5, s1
	v_add_co_u32_e32 v3, vcc, s0, v3
	v_addc_co_u32_e32 v4, vcc, v5, v4, vcc
	global_load_dword v3, v[3:4], off
	v_add_u32_e32 v2, v6, v1
	v_mul_lo_u32 v8, s16, v2
	v_lshrrev_b32_e32 v0, 1, v0
	s_cmp_lg_u32 s8, 0
	v_cmp_gt_u32_e64 s[0:1], s16, v0
	s_cselect_b64 s[4:5], -1, 0
	s_lshl_b32 s17, s16, 1
	s_mov_b64 s[8:9], 0
	s_waitcnt vmcnt(0)
	v_mul_lo_u32 v7, v3, s16
	v_add_u32_e32 v2, v7, v1
	v_mul_lo_u32 v9, s16, v2
	s_branch .LBB23_4
.LBB23_3:                               ;   in Loop: Header=BB23_4 Depth=1
	s_or_b64 exec, exec, s[10:11]
	v_add_u32_e32 v1, 2, v1
	v_cmp_le_i32_e32 vcc, s16, v1
	v_add_u32_e32 v8, s17, v8
	s_or_b64 s[8:9], vcc, s[8:9]
	v_add_u32_e32 v9, s17, v9
	s_andn2_b64 exec, exec, s[8:9]
	s_cbranch_execz .LBB23_15
.LBB23_4:                               ; =>This Loop Header: Depth=1
                                        ;     Child Loop BB23_7 Depth 2
	s_and_saveexec_b64 s[10:11], s[0:1]
	s_cbranch_execz .LBB23_3
; %bb.5:                                ;   in Loop: Header=BB23_4 Depth=1
	s_mov_b64 s[12:13], 0
	v_mov_b32_e32 v10, v0
	s_branch .LBB23_7
.LBB23_6:                               ;   in Loop: Header=BB23_7 Depth=2
	v_ashrrev_i32_e32 v5, 31, v4
	v_lshlrev_b64 v[4:5], 3, v[4:5]
	v_mov_b32_e32 v11, s7
	v_add_co_u32_e32 v4, vcc, s6, v4
	v_addc_co_u32_e32 v5, vcc, v11, v5, vcc
	v_add_u32_e32 v10, 2, v10
	v_cmp_le_i32_e32 vcc, s16, v10
	s_or_b64 s[12:13], vcc, s[12:13]
	s_waitcnt vmcnt(0)
	global_store_dwordx2 v[4:5], v[2:3], off
	s_andn2_b64 exec, exec, s[12:13]
	s_cbranch_execz .LBB23_3
.LBB23_7:                               ;   Parent Loop BB23_4 Depth=1
                                        ; =>  This Inner Loop Header: Depth=2
	s_and_b64 vcc, exec, s[4:5]
	s_cbranch_vccz .LBB23_12
; %bb.8:                                ;   in Loop: Header=BB23_7 Depth=2
	v_add_u32_e32 v2, v9, v10
	s_cbranch_execnz .LBB23_10
.LBB23_9:                               ;   in Loop: Header=BB23_7 Depth=2
	v_add_u32_e32 v2, v10, v7
	v_mad_u64_u32 v[2:3], s[14:15], v2, s16, v[1:2]
.LBB23_10:                              ;   in Loop: Header=BB23_7 Depth=2
	v_ashrrev_i32_e32 v3, 31, v2
	v_lshlrev_b64 v[2:3], 3, v[2:3]
	v_mov_b32_e32 v4, s3
	v_add_co_u32_e32 v2, vcc, s2, v2
	v_addc_co_u32_e32 v3, vcc, v4, v3, vcc
	global_load_dwordx2 v[2:3], v[2:3], off
	s_and_b64 vcc, exec, s[4:5]
	s_cbranch_vccz .LBB23_13
; %bb.11:                               ;   in Loop: Header=BB23_7 Depth=2
	v_add_u32_e32 v4, v10, v6
	s_waitcnt vmcnt(0)
	v_mad_u64_u32 v[4:5], s[14:15], v4, s16, v[1:2]
	s_cbranch_execnz .LBB23_6
	s_branch .LBB23_14
.LBB23_12:                              ;   in Loop: Header=BB23_7 Depth=2
                                        ; implicit-def: $vgpr2
	s_branch .LBB23_9
.LBB23_13:                              ;   in Loop: Header=BB23_7 Depth=2
                                        ; implicit-def: $vgpr4
.LBB23_14:                              ;   in Loop: Header=BB23_7 Depth=2
	v_add_u32_e32 v4, v8, v10
	s_branch .LBB23_6
.LBB23_15:
	s_endpgm
	.section	.rodata,"a",@progbits
	.p2align	6, 0x0
	.amdhsa_kernel _ZN9rocsparseL10bsr_gatherILj4ELj64ELj2EidEEv20rocsparse_direction_T2_PKS2_PKT3_PS5_S2_
		.amdhsa_group_segment_fixed_size 0
		.amdhsa_private_segment_fixed_size 0
		.amdhsa_kernarg_size 36
		.amdhsa_user_sgpr_count 6
		.amdhsa_user_sgpr_private_segment_buffer 1
		.amdhsa_user_sgpr_dispatch_ptr 0
		.amdhsa_user_sgpr_queue_ptr 0
		.amdhsa_user_sgpr_kernarg_segment_ptr 1
		.amdhsa_user_sgpr_dispatch_id 0
		.amdhsa_user_sgpr_flat_scratch_init 0
		.amdhsa_user_sgpr_private_segment_size 0
		.amdhsa_uses_dynamic_stack 0
		.amdhsa_system_sgpr_private_segment_wavefront_offset 0
		.amdhsa_system_sgpr_workgroup_id_x 1
		.amdhsa_system_sgpr_workgroup_id_y 0
		.amdhsa_system_sgpr_workgroup_id_z 0
		.amdhsa_system_sgpr_workgroup_info 0
		.amdhsa_system_vgpr_workitem_id 1
		.amdhsa_next_free_vgpr 12
		.amdhsa_next_free_sgpr 18
		.amdhsa_reserve_vcc 1
		.amdhsa_reserve_flat_scratch 0
		.amdhsa_float_round_mode_32 0
		.amdhsa_float_round_mode_16_64 0
		.amdhsa_float_denorm_mode_32 3
		.amdhsa_float_denorm_mode_16_64 3
		.amdhsa_dx10_clamp 1
		.amdhsa_ieee_mode 1
		.amdhsa_fp16_overflow 0
		.amdhsa_exception_fp_ieee_invalid_op 0
		.amdhsa_exception_fp_denorm_src 0
		.amdhsa_exception_fp_ieee_div_zero 0
		.amdhsa_exception_fp_ieee_overflow 0
		.amdhsa_exception_fp_ieee_underflow 0
		.amdhsa_exception_fp_ieee_inexact 0
		.amdhsa_exception_int_div_zero 0
	.end_amdhsa_kernel
	.section	.text._ZN9rocsparseL10bsr_gatherILj4ELj64ELj2EidEEv20rocsparse_direction_T2_PKS2_PKT3_PS5_S2_,"axG",@progbits,_ZN9rocsparseL10bsr_gatherILj4ELj64ELj2EidEEv20rocsparse_direction_T2_PKS2_PKT3_PS5_S2_,comdat
.Lfunc_end23:
	.size	_ZN9rocsparseL10bsr_gatherILj4ELj64ELj2EidEEv20rocsparse_direction_T2_PKS2_PKT3_PS5_S2_, .Lfunc_end23-_ZN9rocsparseL10bsr_gatherILj4ELj64ELj2EidEEv20rocsparse_direction_T2_PKS2_PKT3_PS5_S2_
                                        ; -- End function
	.set _ZN9rocsparseL10bsr_gatherILj4ELj64ELj2EidEEv20rocsparse_direction_T2_PKS2_PKT3_PS5_S2_.num_vgpr, 12
	.set _ZN9rocsparseL10bsr_gatherILj4ELj64ELj2EidEEv20rocsparse_direction_T2_PKS2_PKT3_PS5_S2_.num_agpr, 0
	.set _ZN9rocsparseL10bsr_gatherILj4ELj64ELj2EidEEv20rocsparse_direction_T2_PKS2_PKT3_PS5_S2_.numbered_sgpr, 18
	.set _ZN9rocsparseL10bsr_gatherILj4ELj64ELj2EidEEv20rocsparse_direction_T2_PKS2_PKT3_PS5_S2_.num_named_barrier, 0
	.set _ZN9rocsparseL10bsr_gatherILj4ELj64ELj2EidEEv20rocsparse_direction_T2_PKS2_PKT3_PS5_S2_.private_seg_size, 0
	.set _ZN9rocsparseL10bsr_gatherILj4ELj64ELj2EidEEv20rocsparse_direction_T2_PKS2_PKT3_PS5_S2_.uses_vcc, 1
	.set _ZN9rocsparseL10bsr_gatherILj4ELj64ELj2EidEEv20rocsparse_direction_T2_PKS2_PKT3_PS5_S2_.uses_flat_scratch, 0
	.set _ZN9rocsparseL10bsr_gatherILj4ELj64ELj2EidEEv20rocsparse_direction_T2_PKS2_PKT3_PS5_S2_.has_dyn_sized_stack, 0
	.set _ZN9rocsparseL10bsr_gatherILj4ELj64ELj2EidEEv20rocsparse_direction_T2_PKS2_PKT3_PS5_S2_.has_recursion, 0
	.set _ZN9rocsparseL10bsr_gatherILj4ELj64ELj2EidEEv20rocsparse_direction_T2_PKS2_PKT3_PS5_S2_.has_indirect_call, 0
	.section	.AMDGPU.csdata,"",@progbits
; Kernel info:
; codeLenInByte = 404
; TotalNumSgprs: 22
; NumVgprs: 12
; ScratchSize: 0
; MemoryBound: 0
; FloatMode: 240
; IeeeMode: 1
; LDSByteSize: 0 bytes/workgroup (compile time only)
; SGPRBlocks: 2
; VGPRBlocks: 2
; NumSGPRsForWavesPerEU: 22
; NumVGPRsForWavesPerEU: 12
; Occupancy: 10
; WaveLimiterHint : 0
; COMPUTE_PGM_RSRC2:SCRATCH_EN: 0
; COMPUTE_PGM_RSRC2:USER_SGPR: 6
; COMPUTE_PGM_RSRC2:TRAP_HANDLER: 0
; COMPUTE_PGM_RSRC2:TGID_X_EN: 1
; COMPUTE_PGM_RSRC2:TGID_Y_EN: 0
; COMPUTE_PGM_RSRC2:TGID_Z_EN: 0
; COMPUTE_PGM_RSRC2:TIDIG_COMP_CNT: 1
	.section	.text._ZN9rocsparseL10bsr_gatherILj16ELj16ELj4EidEEv20rocsparse_direction_T2_PKS2_PKT3_PS5_S2_,"axG",@progbits,_ZN9rocsparseL10bsr_gatherILj16ELj16ELj4EidEEv20rocsparse_direction_T2_PKS2_PKT3_PS5_S2_,comdat
	.globl	_ZN9rocsparseL10bsr_gatherILj16ELj16ELj4EidEEv20rocsparse_direction_T2_PKS2_PKT3_PS5_S2_ ; -- Begin function _ZN9rocsparseL10bsr_gatherILj16ELj16ELj4EidEEv20rocsparse_direction_T2_PKS2_PKT3_PS5_S2_
	.p2align	8
	.type	_ZN9rocsparseL10bsr_gatherILj16ELj16ELj4EidEEv20rocsparse_direction_T2_PKS2_PKT3_PS5_S2_,@function
_ZN9rocsparseL10bsr_gatherILj16ELj16ELj4EidEEv20rocsparse_direction_T2_PKS2_PKT3_PS5_S2_: ; @_ZN9rocsparseL10bsr_gatherILj16ELj16ELj4EidEEv20rocsparse_direction_T2_PKS2_PKT3_PS5_S2_
; %bb.0:
	s_load_dwordx2 s[8:9], s[4:5], 0x0
	v_lshl_add_u32 v2, s6, 4, v1
	s_waitcnt lgkmcnt(0)
	v_cmp_gt_i32_e32 vcc, s9, v2
	s_and_saveexec_b64 s[0:1], vcc
	s_cbranch_execz .LBB24_15
; %bb.1:
	s_load_dword s16, s[4:5], 0x20
	v_and_b32_e32 v1, 3, v0
	s_waitcnt lgkmcnt(0)
	v_cmp_gt_i32_e32 vcc, s16, v1
	s_and_b64 exec, exec, vcc
	s_cbranch_execz .LBB24_15
; %bb.2:
	s_load_dwordx4 s[0:3], s[4:5], 0x8
	s_load_dwordx2 s[6:7], s[4:5], 0x18
	v_ashrrev_i32_e32 v3, 31, v2
	v_lshlrev_b64 v[3:4], 2, v[2:3]
	v_mul_lo_u32 v6, s16, v2
	s_waitcnt lgkmcnt(0)
	v_mov_b32_e32 v5, s1
	v_add_co_u32_e32 v3, vcc, s0, v3
	v_addc_co_u32_e32 v4, vcc, v5, v4, vcc
	global_load_dword v3, v[3:4], off
	v_add_u32_e32 v2, v6, v1
	v_mul_lo_u32 v8, s16, v2
	v_lshrrev_b32_e32 v0, 2, v0
	s_cmp_lg_u32 s8, 0
	v_cmp_gt_u32_e64 s[0:1], s16, v0
	s_cselect_b64 s[4:5], -1, 0
	s_lshl_b32 s17, s16, 2
	s_mov_b64 s[8:9], 0
	s_waitcnt vmcnt(0)
	v_mul_lo_u32 v7, v3, s16
	v_add_u32_e32 v2, v7, v1
	v_mul_lo_u32 v9, s16, v2
	s_branch .LBB24_4
.LBB24_3:                               ;   in Loop: Header=BB24_4 Depth=1
	s_or_b64 exec, exec, s[10:11]
	v_add_u32_e32 v1, 4, v1
	v_cmp_le_i32_e32 vcc, s16, v1
	v_add_u32_e32 v8, s17, v8
	s_or_b64 s[8:9], vcc, s[8:9]
	v_add_u32_e32 v9, s17, v9
	s_andn2_b64 exec, exec, s[8:9]
	s_cbranch_execz .LBB24_15
.LBB24_4:                               ; =>This Loop Header: Depth=1
                                        ;     Child Loop BB24_7 Depth 2
	s_and_saveexec_b64 s[10:11], s[0:1]
	s_cbranch_execz .LBB24_3
; %bb.5:                                ;   in Loop: Header=BB24_4 Depth=1
	s_mov_b64 s[12:13], 0
	v_mov_b32_e32 v10, v0
	s_branch .LBB24_7
.LBB24_6:                               ;   in Loop: Header=BB24_7 Depth=2
	v_ashrrev_i32_e32 v5, 31, v4
	v_lshlrev_b64 v[4:5], 3, v[4:5]
	v_mov_b32_e32 v11, s7
	v_add_co_u32_e32 v4, vcc, s6, v4
	v_addc_co_u32_e32 v5, vcc, v11, v5, vcc
	v_add_u32_e32 v10, 4, v10
	v_cmp_le_i32_e32 vcc, s16, v10
	s_or_b64 s[12:13], vcc, s[12:13]
	s_waitcnt vmcnt(0)
	global_store_dwordx2 v[4:5], v[2:3], off
	s_andn2_b64 exec, exec, s[12:13]
	s_cbranch_execz .LBB24_3
.LBB24_7:                               ;   Parent Loop BB24_4 Depth=1
                                        ; =>  This Inner Loop Header: Depth=2
	s_and_b64 vcc, exec, s[4:5]
	s_cbranch_vccz .LBB24_12
; %bb.8:                                ;   in Loop: Header=BB24_7 Depth=2
	v_add_u32_e32 v2, v9, v10
	s_cbranch_execnz .LBB24_10
.LBB24_9:                               ;   in Loop: Header=BB24_7 Depth=2
	v_add_u32_e32 v2, v10, v7
	v_mad_u64_u32 v[2:3], s[14:15], v2, s16, v[1:2]
.LBB24_10:                              ;   in Loop: Header=BB24_7 Depth=2
	v_ashrrev_i32_e32 v3, 31, v2
	v_lshlrev_b64 v[2:3], 3, v[2:3]
	v_mov_b32_e32 v4, s3
	v_add_co_u32_e32 v2, vcc, s2, v2
	v_addc_co_u32_e32 v3, vcc, v4, v3, vcc
	global_load_dwordx2 v[2:3], v[2:3], off
	s_and_b64 vcc, exec, s[4:5]
	s_cbranch_vccz .LBB24_13
; %bb.11:                               ;   in Loop: Header=BB24_7 Depth=2
	v_add_u32_e32 v4, v10, v6
	s_waitcnt vmcnt(0)
	v_mad_u64_u32 v[4:5], s[14:15], v4, s16, v[1:2]
	s_cbranch_execnz .LBB24_6
	s_branch .LBB24_14
.LBB24_12:                              ;   in Loop: Header=BB24_7 Depth=2
                                        ; implicit-def: $vgpr2
	s_branch .LBB24_9
.LBB24_13:                              ;   in Loop: Header=BB24_7 Depth=2
                                        ; implicit-def: $vgpr4
.LBB24_14:                              ;   in Loop: Header=BB24_7 Depth=2
	v_add_u32_e32 v4, v8, v10
	s_branch .LBB24_6
.LBB24_15:
	s_endpgm
	.section	.rodata,"a",@progbits
	.p2align	6, 0x0
	.amdhsa_kernel _ZN9rocsparseL10bsr_gatherILj16ELj16ELj4EidEEv20rocsparse_direction_T2_PKS2_PKT3_PS5_S2_
		.amdhsa_group_segment_fixed_size 0
		.amdhsa_private_segment_fixed_size 0
		.amdhsa_kernarg_size 36
		.amdhsa_user_sgpr_count 6
		.amdhsa_user_sgpr_private_segment_buffer 1
		.amdhsa_user_sgpr_dispatch_ptr 0
		.amdhsa_user_sgpr_queue_ptr 0
		.amdhsa_user_sgpr_kernarg_segment_ptr 1
		.amdhsa_user_sgpr_dispatch_id 0
		.amdhsa_user_sgpr_flat_scratch_init 0
		.amdhsa_user_sgpr_private_segment_size 0
		.amdhsa_uses_dynamic_stack 0
		.amdhsa_system_sgpr_private_segment_wavefront_offset 0
		.amdhsa_system_sgpr_workgroup_id_x 1
		.amdhsa_system_sgpr_workgroup_id_y 0
		.amdhsa_system_sgpr_workgroup_id_z 0
		.amdhsa_system_sgpr_workgroup_info 0
		.amdhsa_system_vgpr_workitem_id 1
		.amdhsa_next_free_vgpr 12
		.amdhsa_next_free_sgpr 18
		.amdhsa_reserve_vcc 1
		.amdhsa_reserve_flat_scratch 0
		.amdhsa_float_round_mode_32 0
		.amdhsa_float_round_mode_16_64 0
		.amdhsa_float_denorm_mode_32 3
		.amdhsa_float_denorm_mode_16_64 3
		.amdhsa_dx10_clamp 1
		.amdhsa_ieee_mode 1
		.amdhsa_fp16_overflow 0
		.amdhsa_exception_fp_ieee_invalid_op 0
		.amdhsa_exception_fp_denorm_src 0
		.amdhsa_exception_fp_ieee_div_zero 0
		.amdhsa_exception_fp_ieee_overflow 0
		.amdhsa_exception_fp_ieee_underflow 0
		.amdhsa_exception_fp_ieee_inexact 0
		.amdhsa_exception_int_div_zero 0
	.end_amdhsa_kernel
	.section	.text._ZN9rocsparseL10bsr_gatherILj16ELj16ELj4EidEEv20rocsparse_direction_T2_PKS2_PKT3_PS5_S2_,"axG",@progbits,_ZN9rocsparseL10bsr_gatherILj16ELj16ELj4EidEEv20rocsparse_direction_T2_PKS2_PKT3_PS5_S2_,comdat
.Lfunc_end24:
	.size	_ZN9rocsparseL10bsr_gatherILj16ELj16ELj4EidEEv20rocsparse_direction_T2_PKS2_PKT3_PS5_S2_, .Lfunc_end24-_ZN9rocsparseL10bsr_gatherILj16ELj16ELj4EidEEv20rocsparse_direction_T2_PKS2_PKT3_PS5_S2_
                                        ; -- End function
	.set _ZN9rocsparseL10bsr_gatherILj16ELj16ELj4EidEEv20rocsparse_direction_T2_PKS2_PKT3_PS5_S2_.num_vgpr, 12
	.set _ZN9rocsparseL10bsr_gatherILj16ELj16ELj4EidEEv20rocsparse_direction_T2_PKS2_PKT3_PS5_S2_.num_agpr, 0
	.set _ZN9rocsparseL10bsr_gatherILj16ELj16ELj4EidEEv20rocsparse_direction_T2_PKS2_PKT3_PS5_S2_.numbered_sgpr, 18
	.set _ZN9rocsparseL10bsr_gatherILj16ELj16ELj4EidEEv20rocsparse_direction_T2_PKS2_PKT3_PS5_S2_.num_named_barrier, 0
	.set _ZN9rocsparseL10bsr_gatherILj16ELj16ELj4EidEEv20rocsparse_direction_T2_PKS2_PKT3_PS5_S2_.private_seg_size, 0
	.set _ZN9rocsparseL10bsr_gatherILj16ELj16ELj4EidEEv20rocsparse_direction_T2_PKS2_PKT3_PS5_S2_.uses_vcc, 1
	.set _ZN9rocsparseL10bsr_gatherILj16ELj16ELj4EidEEv20rocsparse_direction_T2_PKS2_PKT3_PS5_S2_.uses_flat_scratch, 0
	.set _ZN9rocsparseL10bsr_gatherILj16ELj16ELj4EidEEv20rocsparse_direction_T2_PKS2_PKT3_PS5_S2_.has_dyn_sized_stack, 0
	.set _ZN9rocsparseL10bsr_gatherILj16ELj16ELj4EidEEv20rocsparse_direction_T2_PKS2_PKT3_PS5_S2_.has_recursion, 0
	.set _ZN9rocsparseL10bsr_gatherILj16ELj16ELj4EidEEv20rocsparse_direction_T2_PKS2_PKT3_PS5_S2_.has_indirect_call, 0
	.section	.AMDGPU.csdata,"",@progbits
; Kernel info:
; codeLenInByte = 404
; TotalNumSgprs: 22
; NumVgprs: 12
; ScratchSize: 0
; MemoryBound: 0
; FloatMode: 240
; IeeeMode: 1
; LDSByteSize: 0 bytes/workgroup (compile time only)
; SGPRBlocks: 2
; VGPRBlocks: 2
; NumSGPRsForWavesPerEU: 22
; NumVGPRsForWavesPerEU: 12
; Occupancy: 10
; WaveLimiterHint : 0
; COMPUTE_PGM_RSRC2:SCRATCH_EN: 0
; COMPUTE_PGM_RSRC2:USER_SGPR: 6
; COMPUTE_PGM_RSRC2:TRAP_HANDLER: 0
; COMPUTE_PGM_RSRC2:TGID_X_EN: 1
; COMPUTE_PGM_RSRC2:TGID_Y_EN: 0
; COMPUTE_PGM_RSRC2:TGID_Z_EN: 0
; COMPUTE_PGM_RSRC2:TIDIG_COMP_CNT: 1
	.section	.text._ZN9rocsparseL10bsr_gatherILj64ELj4ELj8EidEEv20rocsparse_direction_T2_PKS2_PKT3_PS5_S2_,"axG",@progbits,_ZN9rocsparseL10bsr_gatherILj64ELj4ELj8EidEEv20rocsparse_direction_T2_PKS2_PKT3_PS5_S2_,comdat
	.globl	_ZN9rocsparseL10bsr_gatherILj64ELj4ELj8EidEEv20rocsparse_direction_T2_PKS2_PKT3_PS5_S2_ ; -- Begin function _ZN9rocsparseL10bsr_gatherILj64ELj4ELj8EidEEv20rocsparse_direction_T2_PKS2_PKT3_PS5_S2_
	.p2align	8
	.type	_ZN9rocsparseL10bsr_gatherILj64ELj4ELj8EidEEv20rocsparse_direction_T2_PKS2_PKT3_PS5_S2_,@function
_ZN9rocsparseL10bsr_gatherILj64ELj4ELj8EidEEv20rocsparse_direction_T2_PKS2_PKT3_PS5_S2_: ; @_ZN9rocsparseL10bsr_gatherILj64ELj4ELj8EidEEv20rocsparse_direction_T2_PKS2_PKT3_PS5_S2_
; %bb.0:
	s_load_dwordx2 s[8:9], s[4:5], 0x0
	v_lshl_add_u32 v2, s6, 2, v1
	s_waitcnt lgkmcnt(0)
	v_cmp_gt_i32_e32 vcc, s9, v2
	s_and_saveexec_b64 s[0:1], vcc
	s_cbranch_execz .LBB25_15
; %bb.1:
	s_load_dword s16, s[4:5], 0x20
	v_and_b32_e32 v1, 7, v0
	s_waitcnt lgkmcnt(0)
	v_cmp_gt_i32_e32 vcc, s16, v1
	s_and_b64 exec, exec, vcc
	s_cbranch_execz .LBB25_15
; %bb.2:
	s_load_dwordx4 s[0:3], s[4:5], 0x8
	s_load_dwordx2 s[6:7], s[4:5], 0x18
	v_ashrrev_i32_e32 v3, 31, v2
	v_lshlrev_b64 v[3:4], 2, v[2:3]
	v_mul_lo_u32 v6, s16, v2
	s_waitcnt lgkmcnt(0)
	v_mov_b32_e32 v5, s1
	v_add_co_u32_e32 v3, vcc, s0, v3
	v_addc_co_u32_e32 v4, vcc, v5, v4, vcc
	global_load_dword v3, v[3:4], off
	v_add_u32_e32 v2, v6, v1
	v_mul_lo_u32 v8, s16, v2
	v_lshrrev_b32_e32 v0, 3, v0
	s_cmp_lg_u32 s8, 0
	v_cmp_gt_u32_e64 s[0:1], s16, v0
	s_cselect_b64 s[4:5], -1, 0
	s_lshl_b32 s17, s16, 3
	s_mov_b64 s[8:9], 0
	s_waitcnt vmcnt(0)
	v_mul_lo_u32 v7, v3, s16
	v_add_u32_e32 v2, v7, v1
	v_mul_lo_u32 v9, s16, v2
	s_branch .LBB25_4
.LBB25_3:                               ;   in Loop: Header=BB25_4 Depth=1
	s_or_b64 exec, exec, s[10:11]
	v_add_u32_e32 v1, 8, v1
	v_cmp_le_i32_e32 vcc, s16, v1
	v_add_u32_e32 v8, s17, v8
	s_or_b64 s[8:9], vcc, s[8:9]
	v_add_u32_e32 v9, s17, v9
	s_andn2_b64 exec, exec, s[8:9]
	s_cbranch_execz .LBB25_15
.LBB25_4:                               ; =>This Loop Header: Depth=1
                                        ;     Child Loop BB25_7 Depth 2
	s_and_saveexec_b64 s[10:11], s[0:1]
	s_cbranch_execz .LBB25_3
; %bb.5:                                ;   in Loop: Header=BB25_4 Depth=1
	s_mov_b64 s[12:13], 0
	v_mov_b32_e32 v10, v0
	s_branch .LBB25_7
.LBB25_6:                               ;   in Loop: Header=BB25_7 Depth=2
	v_ashrrev_i32_e32 v5, 31, v4
	v_lshlrev_b64 v[4:5], 3, v[4:5]
	v_mov_b32_e32 v11, s7
	v_add_co_u32_e32 v4, vcc, s6, v4
	v_addc_co_u32_e32 v5, vcc, v11, v5, vcc
	v_add_u32_e32 v10, 8, v10
	v_cmp_le_i32_e32 vcc, s16, v10
	s_or_b64 s[12:13], vcc, s[12:13]
	s_waitcnt vmcnt(0)
	global_store_dwordx2 v[4:5], v[2:3], off
	s_andn2_b64 exec, exec, s[12:13]
	s_cbranch_execz .LBB25_3
.LBB25_7:                               ;   Parent Loop BB25_4 Depth=1
                                        ; =>  This Inner Loop Header: Depth=2
	s_and_b64 vcc, exec, s[4:5]
	s_cbranch_vccz .LBB25_12
; %bb.8:                                ;   in Loop: Header=BB25_7 Depth=2
	v_add_u32_e32 v2, v9, v10
	s_cbranch_execnz .LBB25_10
.LBB25_9:                               ;   in Loop: Header=BB25_7 Depth=2
	v_add_u32_e32 v2, v10, v7
	v_mad_u64_u32 v[2:3], s[14:15], v2, s16, v[1:2]
.LBB25_10:                              ;   in Loop: Header=BB25_7 Depth=2
	v_ashrrev_i32_e32 v3, 31, v2
	v_lshlrev_b64 v[2:3], 3, v[2:3]
	v_mov_b32_e32 v4, s3
	v_add_co_u32_e32 v2, vcc, s2, v2
	v_addc_co_u32_e32 v3, vcc, v4, v3, vcc
	global_load_dwordx2 v[2:3], v[2:3], off
	s_and_b64 vcc, exec, s[4:5]
	s_cbranch_vccz .LBB25_13
; %bb.11:                               ;   in Loop: Header=BB25_7 Depth=2
	v_add_u32_e32 v4, v10, v6
	s_waitcnt vmcnt(0)
	v_mad_u64_u32 v[4:5], s[14:15], v4, s16, v[1:2]
	s_cbranch_execnz .LBB25_6
	s_branch .LBB25_14
.LBB25_12:                              ;   in Loop: Header=BB25_7 Depth=2
                                        ; implicit-def: $vgpr2
	s_branch .LBB25_9
.LBB25_13:                              ;   in Loop: Header=BB25_7 Depth=2
                                        ; implicit-def: $vgpr4
.LBB25_14:                              ;   in Loop: Header=BB25_7 Depth=2
	v_add_u32_e32 v4, v8, v10
	s_branch .LBB25_6
.LBB25_15:
	s_endpgm
	.section	.rodata,"a",@progbits
	.p2align	6, 0x0
	.amdhsa_kernel _ZN9rocsparseL10bsr_gatherILj64ELj4ELj8EidEEv20rocsparse_direction_T2_PKS2_PKT3_PS5_S2_
		.amdhsa_group_segment_fixed_size 0
		.amdhsa_private_segment_fixed_size 0
		.amdhsa_kernarg_size 36
		.amdhsa_user_sgpr_count 6
		.amdhsa_user_sgpr_private_segment_buffer 1
		.amdhsa_user_sgpr_dispatch_ptr 0
		.amdhsa_user_sgpr_queue_ptr 0
		.amdhsa_user_sgpr_kernarg_segment_ptr 1
		.amdhsa_user_sgpr_dispatch_id 0
		.amdhsa_user_sgpr_flat_scratch_init 0
		.amdhsa_user_sgpr_private_segment_size 0
		.amdhsa_uses_dynamic_stack 0
		.amdhsa_system_sgpr_private_segment_wavefront_offset 0
		.amdhsa_system_sgpr_workgroup_id_x 1
		.amdhsa_system_sgpr_workgroup_id_y 0
		.amdhsa_system_sgpr_workgroup_id_z 0
		.amdhsa_system_sgpr_workgroup_info 0
		.amdhsa_system_vgpr_workitem_id 1
		.amdhsa_next_free_vgpr 12
		.amdhsa_next_free_sgpr 18
		.amdhsa_reserve_vcc 1
		.amdhsa_reserve_flat_scratch 0
		.amdhsa_float_round_mode_32 0
		.amdhsa_float_round_mode_16_64 0
		.amdhsa_float_denorm_mode_32 3
		.amdhsa_float_denorm_mode_16_64 3
		.amdhsa_dx10_clamp 1
		.amdhsa_ieee_mode 1
		.amdhsa_fp16_overflow 0
		.amdhsa_exception_fp_ieee_invalid_op 0
		.amdhsa_exception_fp_denorm_src 0
		.amdhsa_exception_fp_ieee_div_zero 0
		.amdhsa_exception_fp_ieee_overflow 0
		.amdhsa_exception_fp_ieee_underflow 0
		.amdhsa_exception_fp_ieee_inexact 0
		.amdhsa_exception_int_div_zero 0
	.end_amdhsa_kernel
	.section	.text._ZN9rocsparseL10bsr_gatherILj64ELj4ELj8EidEEv20rocsparse_direction_T2_PKS2_PKT3_PS5_S2_,"axG",@progbits,_ZN9rocsparseL10bsr_gatherILj64ELj4ELj8EidEEv20rocsparse_direction_T2_PKS2_PKT3_PS5_S2_,comdat
.Lfunc_end25:
	.size	_ZN9rocsparseL10bsr_gatherILj64ELj4ELj8EidEEv20rocsparse_direction_T2_PKS2_PKT3_PS5_S2_, .Lfunc_end25-_ZN9rocsparseL10bsr_gatherILj64ELj4ELj8EidEEv20rocsparse_direction_T2_PKS2_PKT3_PS5_S2_
                                        ; -- End function
	.set _ZN9rocsparseL10bsr_gatherILj64ELj4ELj8EidEEv20rocsparse_direction_T2_PKS2_PKT3_PS5_S2_.num_vgpr, 12
	.set _ZN9rocsparseL10bsr_gatherILj64ELj4ELj8EidEEv20rocsparse_direction_T2_PKS2_PKT3_PS5_S2_.num_agpr, 0
	.set _ZN9rocsparseL10bsr_gatherILj64ELj4ELj8EidEEv20rocsparse_direction_T2_PKS2_PKT3_PS5_S2_.numbered_sgpr, 18
	.set _ZN9rocsparseL10bsr_gatherILj64ELj4ELj8EidEEv20rocsparse_direction_T2_PKS2_PKT3_PS5_S2_.num_named_barrier, 0
	.set _ZN9rocsparseL10bsr_gatherILj64ELj4ELj8EidEEv20rocsparse_direction_T2_PKS2_PKT3_PS5_S2_.private_seg_size, 0
	.set _ZN9rocsparseL10bsr_gatherILj64ELj4ELj8EidEEv20rocsparse_direction_T2_PKS2_PKT3_PS5_S2_.uses_vcc, 1
	.set _ZN9rocsparseL10bsr_gatherILj64ELj4ELj8EidEEv20rocsparse_direction_T2_PKS2_PKT3_PS5_S2_.uses_flat_scratch, 0
	.set _ZN9rocsparseL10bsr_gatherILj64ELj4ELj8EidEEv20rocsparse_direction_T2_PKS2_PKT3_PS5_S2_.has_dyn_sized_stack, 0
	.set _ZN9rocsparseL10bsr_gatherILj64ELj4ELj8EidEEv20rocsparse_direction_T2_PKS2_PKT3_PS5_S2_.has_recursion, 0
	.set _ZN9rocsparseL10bsr_gatherILj64ELj4ELj8EidEEv20rocsparse_direction_T2_PKS2_PKT3_PS5_S2_.has_indirect_call, 0
	.section	.AMDGPU.csdata,"",@progbits
; Kernel info:
; codeLenInByte = 404
; TotalNumSgprs: 22
; NumVgprs: 12
; ScratchSize: 0
; MemoryBound: 0
; FloatMode: 240
; IeeeMode: 1
; LDSByteSize: 0 bytes/workgroup (compile time only)
; SGPRBlocks: 2
; VGPRBlocks: 2
; NumSGPRsForWavesPerEU: 22
; NumVGPRsForWavesPerEU: 12
; Occupancy: 10
; WaveLimiterHint : 0
; COMPUTE_PGM_RSRC2:SCRATCH_EN: 0
; COMPUTE_PGM_RSRC2:USER_SGPR: 6
; COMPUTE_PGM_RSRC2:TRAP_HANDLER: 0
; COMPUTE_PGM_RSRC2:TGID_X_EN: 1
; COMPUTE_PGM_RSRC2:TGID_Y_EN: 0
; COMPUTE_PGM_RSRC2:TGID_Z_EN: 0
; COMPUTE_PGM_RSRC2:TIDIG_COMP_CNT: 1
	.section	.text._ZN9rocsparseL18bsrsv_lower_sharedILj128ELj64ELi8ELb1EdEEviNS_24const_host_device_scalarIT3_EEPKiS5_PKS2_iS7_PS2_PiS9_S9_21rocsparse_index_base_20rocsparse_diag_type_20rocsparse_direction_b,"axG",@progbits,_ZN9rocsparseL18bsrsv_lower_sharedILj128ELj64ELi8ELb1EdEEviNS_24const_host_device_scalarIT3_EEPKiS5_PKS2_iS7_PS2_PiS9_S9_21rocsparse_index_base_20rocsparse_diag_type_20rocsparse_direction_b,comdat
	.globl	_ZN9rocsparseL18bsrsv_lower_sharedILj128ELj64ELi8ELb1EdEEviNS_24const_host_device_scalarIT3_EEPKiS5_PKS2_iS7_PS2_PiS9_S9_21rocsparse_index_base_20rocsparse_diag_type_20rocsparse_direction_b ; -- Begin function _ZN9rocsparseL18bsrsv_lower_sharedILj128ELj64ELi8ELb1EdEEviNS_24const_host_device_scalarIT3_EEPKiS5_PKS2_iS7_PS2_PiS9_S9_21rocsparse_index_base_20rocsparse_diag_type_20rocsparse_direction_b
	.p2align	8
	.type	_ZN9rocsparseL18bsrsv_lower_sharedILj128ELj64ELi8ELb1EdEEviNS_24const_host_device_scalarIT3_EEPKiS5_PKS2_iS7_PS2_PiS9_S9_21rocsparse_index_base_20rocsparse_diag_type_20rocsparse_direction_b,@function
_ZN9rocsparseL18bsrsv_lower_sharedILj128ELj64ELi8ELb1EdEEviNS_24const_host_device_scalarIT3_EEPKiS5_PKS2_iS7_PS2_PiS9_S9_21rocsparse_index_base_20rocsparse_diag_type_20rocsparse_direction_b: ; @_ZN9rocsparseL18bsrsv_lower_sharedILj128ELj64ELi8ELb1EdEEviNS_24const_host_device_scalarIT3_EEPKiS5_PKS2_iS7_PS2_PiS9_S9_21rocsparse_index_base_20rocsparse_diag_type_20rocsparse_direction_b
; %bb.0:
	s_load_dwordx4 s[8:11], s[4:5], 0x58
	s_load_dwordx2 s[0:1], s[4:5], 0x8
	s_waitcnt lgkmcnt(0)
	s_bitcmp1_b32 s11, 0
	s_cselect_b64 s[2:3], -1, 0
	v_mov_b32_e32 v6, s1
	s_and_b64 vcc, exec, s[2:3]
	v_mov_b32_e32 v5, s0
	s_cbranch_vccnz .LBB26_2
; %bb.1:
	v_mov_b32_e32 v2, s1
	v_mov_b32_e32 v1, s0
	flat_load_dwordx2 v[5:6], v[1:2]
.LBB26_2:
	s_load_dword s7, s[4:5], 0x0
	s_lshl_b32 s0, s6, 1
	v_lshrrev_b32_e32 v1, 6, v0
	s_and_b32 s0, s0, 0x3fffffe
	v_or_b32_e32 v1, s0, v1
	s_waitcnt lgkmcnt(0)
	v_cmp_gt_i32_e32 vcc, s7, v1
	s_and_saveexec_b64 s[0:1], vcc
	s_cbranch_execz .LBB26_31
; %bb.3:
	s_load_dwordx2 s[0:1], s[4:5], 0x48
	s_load_dwordx4 s[12:15], s[4:5], 0x38
	v_lshlrev_b32_e32 v1, 2, v1
	v_mov_b32_e32 v9, 0
	v_mov_b32_e32 v10, 0
	s_waitcnt lgkmcnt(0)
	global_load_dword v1, v1, s[0:1]
	s_load_dwordx2 s[0:1], s[4:5], 0x10
	s_load_dword s33, s[4:5], 0x28
	s_waitcnt lgkmcnt(0)
	v_mov_b32_e32 v4, s1
	s_waitcnt vmcnt(0)
	v_ashrrev_i32_e32 v2, 31, v1
	v_lshlrev_b64 v[2:3], 2, v[1:2]
	v_add_co_u32_e32 v7, vcc, s0, v2
	v_addc_co_u32_e32 v8, vcc, v4, v3, vcc
	global_load_dwordx2 v[7:8], v[7:8], off
	v_and_b32_e32 v4, 63, v0
	v_cmp_gt_i32_e64 s[0:1], s33, v4
	s_and_saveexec_b64 s[2:3], s[0:1]
	s_cbranch_execz .LBB26_5
; %bb.4:
	v_mad_u64_u32 v[9:10], s[16:17], v1, s33, v[4:5]
	s_load_dwordx2 s[16:17], s[4:5], 0x30
	v_ashrrev_i32_e32 v10, 31, v9
	v_lshlrev_b64 v[9:10], 3, v[9:10]
	s_waitcnt lgkmcnt(0)
	v_mov_b32_e32 v11, s17
	v_add_co_u32_e32 v9, vcc, s16, v9
	v_addc_co_u32_e32 v10, vcc, v11, v10, vcc
	global_load_dwordx2 v[9:10], v[9:10], off
.LBB26_5:
	s_or_b64 exec, exec, s[2:3]
	s_waitcnt vmcnt(0)
	v_mul_f64 v[5:6], v[5:6], v[9:10]
	s_load_dwordx2 s[20:21], s[4:5], 0x50
	v_and_b32_e32 v9, 64, v0
	v_lshlrev_b32_e32 v13, 3, v9
	v_cmp_lt_i32_e32 vcc, v7, v8
	v_mov_b32_e32 v10, s7
	s_and_saveexec_b64 s[22:23], vcc
	s_cbranch_execz .LBB26_28
; %bb.6:
	s_load_dwordx4 s[16:19], s[4:5], 0x18
	v_or_b32_e32 v14, 0x400, v9
	v_and_b32_e32 v0, 7, v0
	v_lshrrev_b32_e32 v9, 3, v4
	v_lshlrev_b32_e32 v10, 3, v4
	v_add_u32_e32 v16, v14, v10
	v_add_u32_e32 v17, v13, v10
	v_max_i32_e32 v10, v0, v9
	v_subrev_u32_e32 v15, s8, v8
	s_cmp_lg_u32 s10, 0
	v_lshl_add_u32 v8, v0, 3, v13
	v_cmp_gt_i32_e64 s[4:5], s33, v10
	v_lshlrev_b32_e32 v10, 6, v9
	v_subrev_u32_e32 v7, s8, v7
	s_cselect_b64 s[10:11], -1, 0
	v_cmp_gt_u32_e64 s[2:3], 8, v4
	s_mov_b64 s[24:25], 0
	s_waitcnt lgkmcnt(0)
	v_mov_b32_e32 v18, s17
	v_add_u32_e32 v19, v8, v10
	s_branch .LBB26_9
.LBB26_7:                               ;   in Loop: Header=BB26_9 Depth=1
	s_or_b64 exec, exec, s[6:7]
.LBB26_8:                               ;   in Loop: Header=BB26_9 Depth=1
	s_or_b64 exec, exec, s[26:27]
	v_add_u32_e32 v7, 1, v7
	v_cmp_ge_i32_e64 s[6:7], v7, v15
	s_xor_b64 s[26:27], vcc, -1
	s_or_b64 s[6:7], s[26:27], s[6:7]
	s_and_b64 s[6:7], exec, s[6:7]
	s_or_b64 s[24:25], s[6:7], s[24:25]
	s_andn2_b64 exec, exec, s[24:25]
	s_cbranch_execz .LBB26_27
.LBB26_9:                               ; =>This Loop Header: Depth=1
                                        ;     Child Loop BB26_18 Depth 2
                                        ;       Child Loop BB26_19 Depth 3
	v_ashrrev_i32_e32 v8, 31, v7
	v_lshlrev_b64 v[10:11], 2, v[7:8]
	v_add_co_u32_e32 v10, vcc, s16, v10
	v_addc_co_u32_e32 v11, vcc, v18, v11, vcc
	global_load_dword v8, v[10:11], off
	v_mov_b32_e32 v11, 0
	v_mov_b32_e32 v12, 0
	s_and_saveexec_b64 s[6:7], s[4:5]
	s_cbranch_execz .LBB26_14
; %bb.10:                               ;   in Loop: Header=BB26_9 Depth=1
	v_mul_lo_u32 v12, v7, s33
	s_and_b64 vcc, exec, s[10:11]
	s_cbranch_vccz .LBB26_26
; %bb.11:                               ;   in Loop: Header=BB26_9 Depth=1
	v_add_u32_e32 v10, v12, v9
	v_mad_u64_u32 v[10:11], s[26:27], v10, s33, v[0:1]
	s_cbranch_execnz .LBB26_13
.LBB26_12:                              ;   in Loop: Header=BB26_9 Depth=1
	v_add_u32_e32 v10, v12, v0
	v_mad_u64_u32 v[10:11], s[26:27], v10, s33, v[9:10]
.LBB26_13:                              ;   in Loop: Header=BB26_9 Depth=1
	v_ashrrev_i32_e32 v11, 31, v10
	v_lshlrev_b64 v[10:11], 3, v[10:11]
	v_mov_b32_e32 v12, s19
	v_add_co_u32_e32 v10, vcc, s18, v10
	v_addc_co_u32_e32 v11, vcc, v12, v11, vcc
	global_load_dwordx2 v[11:12], v[10:11], off
.LBB26_14:                              ;   in Loop: Header=BB26_9 Depth=1
	s_or_b64 exec, exec, s[6:7]
	s_waitcnt vmcnt(0)
	v_subrev_u32_e32 v10, s8, v8
	v_cmp_lt_i32_e32 vcc, v10, v1
	ds_write_b64 v19, v[11:12]
	s_and_saveexec_b64 s[26:27], vcc
	s_cbranch_execz .LBB26_8
; %bb.15:                               ;   in Loop: Header=BB26_9 Depth=1
	v_ashrrev_i32_e32 v11, 31, v10
	v_lshlrev_b64 v[11:12], 2, v[10:11]
	v_mov_b32_e32 v8, s15
	v_add_co_u32_e64 v11, s[6:7], s14, v11
	v_addc_co_u32_e64 v12, s[6:7], v8, v12, s[6:7]
	global_load_dword v8, v[11:12], off glc
	s_waitcnt vmcnt(0)
	v_cmp_eq_u32_e64 s[6:7], 0, v8
	s_and_saveexec_b64 s[28:29], s[6:7]
	s_cbranch_execz .LBB26_20
; %bb.16:                               ;   in Loop: Header=BB26_9 Depth=1
	s_mov_b32 s17, 0
	s_mov_b64 s[30:31], 0
	s_branch .LBB26_18
.LBB26_17:                              ;   in Loop: Header=BB26_18 Depth=2
	global_load_dword v8, v[11:12], off glc
	s_cmpk_lt_u32 s17, 0xf43
	s_cselect_b64 s[6:7], -1, 0
	s_cmp_lg_u64 s[6:7], 0
	s_addc_u32 s17, s17, 0
	s_waitcnt vmcnt(0)
	v_cmp_ne_u32_e64 s[6:7], 0, v8
	s_or_b64 s[30:31], s[6:7], s[30:31]
	s_andn2_b64 exec, exec, s[30:31]
	s_cbranch_execz .LBB26_20
.LBB26_18:                              ;   Parent Loop BB26_9 Depth=1
                                        ; =>  This Loop Header: Depth=2
                                        ;       Child Loop BB26_19 Depth 3
	s_cmp_eq_u32 s17, 0
	s_mov_b32 s6, s17
	s_cbranch_scc1 .LBB26_17
.LBB26_19:                              ;   Parent Loop BB26_9 Depth=1
                                        ;     Parent Loop BB26_18 Depth=2
                                        ; =>    This Inner Loop Header: Depth=3
	s_add_i32 s6, s6, -1
	s_cmp_eq_u32 s6, 0
	s_sleep 1
	s_cbranch_scc0 .LBB26_19
	s_branch .LBB26_17
.LBB26_20:                              ;   in Loop: Header=BB26_9 Depth=1
	s_or_b64 exec, exec, s[28:29]
	s_waitcnt lgkmcnt(0)
	buffer_wbinvl1_vol
	s_and_saveexec_b64 s[28:29], s[2:3]
	s_cbranch_execz .LBB26_24
; %bb.21:                               ;   in Loop: Header=BB26_9 Depth=1
	v_mov_b32_e32 v11, 0
	v_mov_b32_e32 v12, 0
	s_and_saveexec_b64 s[30:31], s[0:1]
	s_cbranch_execz .LBB26_23
; %bb.22:                               ;   in Loop: Header=BB26_9 Depth=1
	v_mad_u64_u32 v[11:12], s[6:7], v10, s33, v[4:5]
	v_mov_b32_e32 v8, s13
	v_ashrrev_i32_e32 v12, 31, v11
	v_lshlrev_b64 v[11:12], 3, v[11:12]
	v_add_co_u32_e64 v11, s[6:7], s12, v11
	v_addc_co_u32_e64 v12, s[6:7], v8, v12, s[6:7]
	global_load_dwordx2 v[11:12], v[11:12], off
.LBB26_23:                              ;   in Loop: Header=BB26_9 Depth=1
	s_or_b64 exec, exec, s[30:31]
	s_waitcnt vmcnt(0)
	ds_write_b64 v16, v[11:12]
.LBB26_24:                              ;   in Loop: Header=BB26_9 Depth=1
	s_or_b64 exec, exec, s[28:29]
	s_waitcnt lgkmcnt(0)
	s_and_saveexec_b64 s[6:7], s[0:1]
	s_cbranch_execz .LBB26_7
; %bb.25:                               ;   in Loop: Header=BB26_9 Depth=1
	ds_read2_b64 v[20:23], v17 offset1:8
	ds_read_b128 v[24:27], v14
	ds_read_b128 v[28:31], v14 offset:16
	s_waitcnt lgkmcnt(1)
	v_fma_f64 v[5:6], -v[20:21], v[24:25], v[5:6]
	v_fma_f64 v[5:6], -v[22:23], v[26:27], v[5:6]
	ds_read2_b64 v[20:23], v17 offset0:16 offset1:24
	s_waitcnt lgkmcnt(0)
	v_fma_f64 v[5:6], -v[20:21], v[28:29], v[5:6]
	v_fma_f64 v[5:6], -v[22:23], v[30:31], v[5:6]
	ds_read2_b64 v[20:23], v17 offset0:32 offset1:40
	ds_read_b128 v[24:27], v14 offset:32
	ds_read_b128 v[28:31], v14 offset:48
	s_waitcnt lgkmcnt(1)
	v_fma_f64 v[5:6], -v[20:21], v[24:25], v[5:6]
	v_fma_f64 v[5:6], -v[22:23], v[26:27], v[5:6]
	ds_read2_b64 v[20:23], v17 offset0:48 offset1:56
	s_waitcnt lgkmcnt(0)
	v_fma_f64 v[5:6], -v[20:21], v[28:29], v[5:6]
	v_fma_f64 v[5:6], -v[22:23], v[30:31], v[5:6]
	s_branch .LBB26_7
.LBB26_26:                              ;   in Loop: Header=BB26_9 Depth=1
                                        ; implicit-def: $vgpr10
	s_branch .LBB26_12
.LBB26_27:
	s_or_b64 exec, exec, s[24:25]
.LBB26_28:
	s_or_b64 exec, exec, s[22:23]
	s_cmp_gt_i32 s33, 0
	v_cmp_eq_u32_e32 vcc, v10, v1
	s_cselect_b64 s[2:3], -1, 0
	s_mov_b32 s22, 0
	s_and_b64 s[4:5], s[2:3], vcc
	s_mov_b64 s[2:3], 0
	s_and_saveexec_b64 s[6:7], s[4:5]
	s_cbranch_execnz .LBB26_32
; %bb.29:
	s_or_b64 exec, exec, s[6:7]
	s_and_saveexec_b64 s[4:5], s[0:1]
	s_cbranch_execnz .LBB26_43
.LBB26_30:
	s_or_b64 exec, exec, s[4:5]
	v_cmp_eq_u32_e32 vcc, 0, v4
	s_and_b64 exec, exec, vcc
	s_cbranch_execnz .LBB26_44
.LBB26_31:
	s_endpgm
.LBB26_32:
	s_cmp_eq_u32 s9, 0
	v_mbcnt_lo_u32_b32 v0, -1, 0
	s_cselect_b64 s[2:3], -1, 0
	v_mbcnt_hi_u32_b32 v0, -1, v0
	v_cndmask_b32_e64 v7, 0, 1, s[2:3]
	v_and_b32_e32 v0, 64, v0
	v_lshl_add_u32 v11, v4, 3, v13
	s_mov_b64 s[10:11], 0
	v_cmp_ne_u32_e64 s[2:3], 1, v7
	s_branch .LBB26_35
.LBB26_33:                              ;   in Loop: Header=BB26_35 Depth=1
	s_or_b64 exec, exec, s[18:19]
.LBB26_34:                              ;   in Loop: Header=BB26_35 Depth=1
	s_or_b64 exec, exec, s[16:17]
	s_or_b64 s[10:11], s[4:5], s[10:11]
	s_add_i32 s22, s22, 1
	v_add_u32_e32 v11, 64, v11
	s_cmp_lg_u32 s33, s22
	v_add_u32_e32 v13, 0x48, v13
	s_cbranch_scc0 .LBB26_42
.LBB26_35:                              ; =>This Inner Loop Header: Depth=1
	v_mov_b32_e32 v7, 0
	v_mov_b32_e32 v8, 0x3ff00000
	s_and_b64 vcc, exec, s[2:3]
	s_cbranch_vccnz .LBB26_37
; %bb.36:                               ;   in Loop: Header=BB26_35 Depth=1
	ds_read_b64 v[7:8], v13
.LBB26_37:                              ;   in Loop: Header=BB26_35 Depth=1
	s_waitcnt lgkmcnt(0)
	v_cmp_eq_f64_e64 s[4:5], 0, v[7:8]
	v_and_or_b32 v9, s22, 63, v0
	v_lshlrev_b32_e32 v10, 2, v9
	ds_bpermute_b32 v9, v10, v5
	ds_bpermute_b32 v10, v10, v6
	s_and_saveexec_b64 s[16:17], s[0:1]
	s_cbranch_execz .LBB26_34
; %bb.38:                               ;   in Loop: Header=BB26_35 Depth=1
	s_waitcnt lgkmcnt(0)
	v_div_scale_f64 v[14:15], s[18:19], v[7:8], v[7:8], v[9:10]
	v_rcp_f64_e32 v[16:17], v[14:15]
	v_fma_f64 v[18:19], -v[14:15], v[16:17], 1.0
	v_fma_f64 v[16:17], v[16:17], v[18:19], v[16:17]
	v_div_scale_f64 v[18:19], vcc, v[9:10], v[7:8], v[9:10]
	v_fma_f64 v[20:21], -v[14:15], v[16:17], 1.0
	v_fma_f64 v[16:17], v[16:17], v[20:21], v[16:17]
	v_mul_f64 v[20:21], v[18:19], v[16:17]
	v_fma_f64 v[14:15], -v[14:15], v[20:21], v[18:19]
	v_div_fmas_f64 v[14:15], v[14:15], v[16:17], v[20:21]
	v_cmp_ge_u32_e32 vcc, s22, v4
	v_div_fixup_f64 v[7:8], v[14:15], v[7:8], v[9:10]
	v_cndmask_b32_e64 v8, v8, v10, s[4:5]
	v_cndmask_b32_e64 v7, v7, v9, s[4:5]
	s_and_saveexec_b64 s[18:19], vcc
	s_xor_b64 s[18:19], exec, s[18:19]
; %bb.39:                               ;   in Loop: Header=BB26_35 Depth=1
	v_cmp_eq_u32_e32 vcc, s22, v4
	v_cndmask_b32_e32 v6, v6, v8, vcc
	v_cndmask_b32_e32 v5, v5, v7, vcc
                                        ; implicit-def: $vgpr7_vgpr8
; %bb.40:                               ;   in Loop: Header=BB26_35 Depth=1
	s_andn2_saveexec_b64 s[18:19], s[18:19]
	s_cbranch_execz .LBB26_33
; %bb.41:                               ;   in Loop: Header=BB26_35 Depth=1
	ds_read_b64 v[9:10], v11
	s_waitcnt lgkmcnt(0)
	v_fma_f64 v[5:6], -v[7:8], v[9:10], v[5:6]
	s_branch .LBB26_33
.LBB26_42:
	s_and_b64 s[2:3], s[10:11], exec
	s_or_b64 exec, exec, s[6:7]
	s_and_saveexec_b64 s[4:5], s[0:1]
	s_cbranch_execz .LBB26_30
.LBB26_43:
	v_mad_u64_u32 v[7:8], s[0:1], v1, s33, v[4:5]
	v_mov_b32_e32 v0, s13
	v_ashrrev_i32_e32 v8, 31, v7
	v_lshlrev_b64 v[7:8], 3, v[7:8]
	v_add_co_u32_e32 v7, vcc, s12, v7
	v_addc_co_u32_e32 v8, vcc, v0, v8, vcc
	global_store_dwordx2 v[7:8], v[5:6], off
	s_or_b64 exec, exec, s[4:5]
	v_cmp_eq_u32_e32 vcc, 0, v4
	s_and_b64 exec, exec, vcc
	s_cbranch_execz .LBB26_31
.LBB26_44:
	v_mov_b32_e32 v0, s15
	v_add_co_u32_e32 v2, vcc, s14, v2
	v_addc_co_u32_e32 v3, vcc, v0, v3, vcc
	v_mov_b32_e32 v0, 1
	s_waitcnt vmcnt(0) lgkmcnt(0)
	global_store_dword v[2:3], v0, off
	s_and_b64 exec, exec, s[2:3]
	s_cbranch_execz .LBB26_31
; %bb.45:
	s_mov_b64 s[0:1], exec
	v_add_u32_e32 v0, s8, v1
	s_brev_b32 s2, -2
.LBB26_46:                              ; =>This Inner Loop Header: Depth=1
	s_ff1_i32_b64 s3, s[0:1]
	v_readlane_b32 s6, v0, s3
	s_lshl_b64 s[4:5], 1, s3
	s_min_i32 s2, s2, s6
	s_andn2_b64 s[0:1], s[0:1], s[4:5]
	s_cmp_lg_u64 s[0:1], 0
	s_cbranch_scc1 .LBB26_46
; %bb.47:
	v_mbcnt_lo_u32_b32 v0, exec_lo, 0
	v_mbcnt_hi_u32_b32 v0, exec_hi, v0
	v_cmp_eq_u32_e32 vcc, 0, v0
	s_and_saveexec_b64 s[0:1], vcc
	s_xor_b64 s[0:1], exec, s[0:1]
	s_cbranch_execz .LBB26_31
; %bb.48:
	v_mov_b32_e32 v0, 0
	v_mov_b32_e32 v1, s2
	global_atomic_smin v0, v1, s[20:21]
	s_endpgm
	.section	.rodata,"a",@progbits
	.p2align	6, 0x0
	.amdhsa_kernel _ZN9rocsparseL18bsrsv_lower_sharedILj128ELj64ELi8ELb1EdEEviNS_24const_host_device_scalarIT3_EEPKiS5_PKS2_iS7_PS2_PiS9_S9_21rocsparse_index_base_20rocsparse_diag_type_20rocsparse_direction_b
		.amdhsa_group_segment_fixed_size 1152
		.amdhsa_private_segment_fixed_size 0
		.amdhsa_kernarg_size 104
		.amdhsa_user_sgpr_count 6
		.amdhsa_user_sgpr_private_segment_buffer 1
		.amdhsa_user_sgpr_dispatch_ptr 0
		.amdhsa_user_sgpr_queue_ptr 0
		.amdhsa_user_sgpr_kernarg_segment_ptr 1
		.amdhsa_user_sgpr_dispatch_id 0
		.amdhsa_user_sgpr_flat_scratch_init 0
		.amdhsa_user_sgpr_private_segment_size 0
		.amdhsa_uses_dynamic_stack 0
		.amdhsa_system_sgpr_private_segment_wavefront_offset 0
		.amdhsa_system_sgpr_workgroup_id_x 1
		.amdhsa_system_sgpr_workgroup_id_y 0
		.amdhsa_system_sgpr_workgroup_id_z 0
		.amdhsa_system_sgpr_workgroup_info 0
		.amdhsa_system_vgpr_workitem_id 0
		.amdhsa_next_free_vgpr 32
		.amdhsa_next_free_sgpr 34
		.amdhsa_reserve_vcc 1
		.amdhsa_reserve_flat_scratch 0
		.amdhsa_float_round_mode_32 0
		.amdhsa_float_round_mode_16_64 0
		.amdhsa_float_denorm_mode_32 3
		.amdhsa_float_denorm_mode_16_64 3
		.amdhsa_dx10_clamp 1
		.amdhsa_ieee_mode 1
		.amdhsa_fp16_overflow 0
		.amdhsa_exception_fp_ieee_invalid_op 0
		.amdhsa_exception_fp_denorm_src 0
		.amdhsa_exception_fp_ieee_div_zero 0
		.amdhsa_exception_fp_ieee_overflow 0
		.amdhsa_exception_fp_ieee_underflow 0
		.amdhsa_exception_fp_ieee_inexact 0
		.amdhsa_exception_int_div_zero 0
	.end_amdhsa_kernel
	.section	.text._ZN9rocsparseL18bsrsv_lower_sharedILj128ELj64ELi8ELb1EdEEviNS_24const_host_device_scalarIT3_EEPKiS5_PKS2_iS7_PS2_PiS9_S9_21rocsparse_index_base_20rocsparse_diag_type_20rocsparse_direction_b,"axG",@progbits,_ZN9rocsparseL18bsrsv_lower_sharedILj128ELj64ELi8ELb1EdEEviNS_24const_host_device_scalarIT3_EEPKiS5_PKS2_iS7_PS2_PiS9_S9_21rocsparse_index_base_20rocsparse_diag_type_20rocsparse_direction_b,comdat
.Lfunc_end26:
	.size	_ZN9rocsparseL18bsrsv_lower_sharedILj128ELj64ELi8ELb1EdEEviNS_24const_host_device_scalarIT3_EEPKiS5_PKS2_iS7_PS2_PiS9_S9_21rocsparse_index_base_20rocsparse_diag_type_20rocsparse_direction_b, .Lfunc_end26-_ZN9rocsparseL18bsrsv_lower_sharedILj128ELj64ELi8ELb1EdEEviNS_24const_host_device_scalarIT3_EEPKiS5_PKS2_iS7_PS2_PiS9_S9_21rocsparse_index_base_20rocsparse_diag_type_20rocsparse_direction_b
                                        ; -- End function
	.set _ZN9rocsparseL18bsrsv_lower_sharedILj128ELj64ELi8ELb1EdEEviNS_24const_host_device_scalarIT3_EEPKiS5_PKS2_iS7_PS2_PiS9_S9_21rocsparse_index_base_20rocsparse_diag_type_20rocsparse_direction_b.num_vgpr, 32
	.set _ZN9rocsparseL18bsrsv_lower_sharedILj128ELj64ELi8ELb1EdEEviNS_24const_host_device_scalarIT3_EEPKiS5_PKS2_iS7_PS2_PiS9_S9_21rocsparse_index_base_20rocsparse_diag_type_20rocsparse_direction_b.num_agpr, 0
	.set _ZN9rocsparseL18bsrsv_lower_sharedILj128ELj64ELi8ELb1EdEEviNS_24const_host_device_scalarIT3_EEPKiS5_PKS2_iS7_PS2_PiS9_S9_21rocsparse_index_base_20rocsparse_diag_type_20rocsparse_direction_b.numbered_sgpr, 34
	.set _ZN9rocsparseL18bsrsv_lower_sharedILj128ELj64ELi8ELb1EdEEviNS_24const_host_device_scalarIT3_EEPKiS5_PKS2_iS7_PS2_PiS9_S9_21rocsparse_index_base_20rocsparse_diag_type_20rocsparse_direction_b.num_named_barrier, 0
	.set _ZN9rocsparseL18bsrsv_lower_sharedILj128ELj64ELi8ELb1EdEEviNS_24const_host_device_scalarIT3_EEPKiS5_PKS2_iS7_PS2_PiS9_S9_21rocsparse_index_base_20rocsparse_diag_type_20rocsparse_direction_b.private_seg_size, 0
	.set _ZN9rocsparseL18bsrsv_lower_sharedILj128ELj64ELi8ELb1EdEEviNS_24const_host_device_scalarIT3_EEPKiS5_PKS2_iS7_PS2_PiS9_S9_21rocsparse_index_base_20rocsparse_diag_type_20rocsparse_direction_b.uses_vcc, 1
	.set _ZN9rocsparseL18bsrsv_lower_sharedILj128ELj64ELi8ELb1EdEEviNS_24const_host_device_scalarIT3_EEPKiS5_PKS2_iS7_PS2_PiS9_S9_21rocsparse_index_base_20rocsparse_diag_type_20rocsparse_direction_b.uses_flat_scratch, 0
	.set _ZN9rocsparseL18bsrsv_lower_sharedILj128ELj64ELi8ELb1EdEEviNS_24const_host_device_scalarIT3_EEPKiS5_PKS2_iS7_PS2_PiS9_S9_21rocsparse_index_base_20rocsparse_diag_type_20rocsparse_direction_b.has_dyn_sized_stack, 0
	.set _ZN9rocsparseL18bsrsv_lower_sharedILj128ELj64ELi8ELb1EdEEviNS_24const_host_device_scalarIT3_EEPKiS5_PKS2_iS7_PS2_PiS9_S9_21rocsparse_index_base_20rocsparse_diag_type_20rocsparse_direction_b.has_recursion, 0
	.set _ZN9rocsparseL18bsrsv_lower_sharedILj128ELj64ELi8ELb1EdEEviNS_24const_host_device_scalarIT3_EEPKiS5_PKS2_iS7_PS2_PiS9_S9_21rocsparse_index_base_20rocsparse_diag_type_20rocsparse_direction_b.has_indirect_call, 0
	.section	.AMDGPU.csdata,"",@progbits
; Kernel info:
; codeLenInByte = 1652
; TotalNumSgprs: 38
; NumVgprs: 32
; ScratchSize: 0
; MemoryBound: 0
; FloatMode: 240
; IeeeMode: 1
; LDSByteSize: 1152 bytes/workgroup (compile time only)
; SGPRBlocks: 4
; VGPRBlocks: 7
; NumSGPRsForWavesPerEU: 38
; NumVGPRsForWavesPerEU: 32
; Occupancy: 8
; WaveLimiterHint : 1
; COMPUTE_PGM_RSRC2:SCRATCH_EN: 0
; COMPUTE_PGM_RSRC2:USER_SGPR: 6
; COMPUTE_PGM_RSRC2:TRAP_HANDLER: 0
; COMPUTE_PGM_RSRC2:TGID_X_EN: 1
; COMPUTE_PGM_RSRC2:TGID_Y_EN: 0
; COMPUTE_PGM_RSRC2:TGID_Z_EN: 0
; COMPUTE_PGM_RSRC2:TIDIG_COMP_CNT: 0
	.section	.text._ZN9rocsparseL18bsrsv_lower_sharedILj128ELj64ELi8ELb0EdEEviNS_24const_host_device_scalarIT3_EEPKiS5_PKS2_iS7_PS2_PiS9_S9_21rocsparse_index_base_20rocsparse_diag_type_20rocsparse_direction_b,"axG",@progbits,_ZN9rocsparseL18bsrsv_lower_sharedILj128ELj64ELi8ELb0EdEEviNS_24const_host_device_scalarIT3_EEPKiS5_PKS2_iS7_PS2_PiS9_S9_21rocsparse_index_base_20rocsparse_diag_type_20rocsparse_direction_b,comdat
	.globl	_ZN9rocsparseL18bsrsv_lower_sharedILj128ELj64ELi8ELb0EdEEviNS_24const_host_device_scalarIT3_EEPKiS5_PKS2_iS7_PS2_PiS9_S9_21rocsparse_index_base_20rocsparse_diag_type_20rocsparse_direction_b ; -- Begin function _ZN9rocsparseL18bsrsv_lower_sharedILj128ELj64ELi8ELb0EdEEviNS_24const_host_device_scalarIT3_EEPKiS5_PKS2_iS7_PS2_PiS9_S9_21rocsparse_index_base_20rocsparse_diag_type_20rocsparse_direction_b
	.p2align	8
	.type	_ZN9rocsparseL18bsrsv_lower_sharedILj128ELj64ELi8ELb0EdEEviNS_24const_host_device_scalarIT3_EEPKiS5_PKS2_iS7_PS2_PiS9_S9_21rocsparse_index_base_20rocsparse_diag_type_20rocsparse_direction_b,@function
_ZN9rocsparseL18bsrsv_lower_sharedILj128ELj64ELi8ELb0EdEEviNS_24const_host_device_scalarIT3_EEPKiS5_PKS2_iS7_PS2_PiS9_S9_21rocsparse_index_base_20rocsparse_diag_type_20rocsparse_direction_b: ; @_ZN9rocsparseL18bsrsv_lower_sharedILj128ELj64ELi8ELb0EdEEviNS_24const_host_device_scalarIT3_EEPKiS5_PKS2_iS7_PS2_PiS9_S9_21rocsparse_index_base_20rocsparse_diag_type_20rocsparse_direction_b
; %bb.0:
	s_load_dwordx4 s[8:11], s[4:5], 0x58
	s_load_dwordx2 s[0:1], s[4:5], 0x8
	s_waitcnt lgkmcnt(0)
	s_bitcmp1_b32 s11, 0
	s_cselect_b64 s[2:3], -1, 0
	v_mov_b32_e32 v6, s1
	s_and_b64 vcc, exec, s[2:3]
	v_mov_b32_e32 v5, s0
	s_cbranch_vccnz .LBB27_2
; %bb.1:
	v_mov_b32_e32 v2, s1
	v_mov_b32_e32 v1, s0
	flat_load_dwordx2 v[5:6], v[1:2]
.LBB27_2:
	s_load_dword s7, s[4:5], 0x0
	s_lshl_b32 s0, s6, 1
	v_lshrrev_b32_e32 v1, 6, v0
	s_and_b32 s0, s0, 0x3fffffe
	v_or_b32_e32 v1, s0, v1
	s_waitcnt lgkmcnt(0)
	v_cmp_gt_i32_e32 vcc, s7, v1
	s_and_saveexec_b64 s[0:1], vcc
	s_cbranch_execz .LBB27_29
; %bb.3:
	s_load_dwordx2 s[0:1], s[4:5], 0x48
	s_load_dwordx4 s[12:15], s[4:5], 0x38
	v_lshlrev_b32_e32 v1, 2, v1
	v_mov_b32_e32 v9, 0
	v_mov_b32_e32 v10, 0
	s_waitcnt lgkmcnt(0)
	global_load_dword v1, v1, s[0:1]
	s_load_dwordx2 s[0:1], s[4:5], 0x10
	s_load_dword s33, s[4:5], 0x28
	s_waitcnt lgkmcnt(0)
	v_mov_b32_e32 v4, s1
	s_waitcnt vmcnt(0)
	v_ashrrev_i32_e32 v2, 31, v1
	v_lshlrev_b64 v[2:3], 2, v[1:2]
	v_add_co_u32_e32 v7, vcc, s0, v2
	v_addc_co_u32_e32 v8, vcc, v4, v3, vcc
	global_load_dwordx2 v[7:8], v[7:8], off
	v_and_b32_e32 v4, 63, v0
	v_cmp_gt_i32_e64 s[0:1], s33, v4
	s_and_saveexec_b64 s[2:3], s[0:1]
	s_cbranch_execz .LBB27_5
; %bb.4:
	v_mad_u64_u32 v[9:10], s[16:17], v1, s33, v[4:5]
	s_load_dwordx2 s[16:17], s[4:5], 0x30
	v_ashrrev_i32_e32 v10, 31, v9
	v_lshlrev_b64 v[9:10], 3, v[9:10]
	s_waitcnt lgkmcnt(0)
	v_mov_b32_e32 v11, s17
	v_add_co_u32_e32 v9, vcc, s16, v9
	v_addc_co_u32_e32 v10, vcc, v11, v10, vcc
	global_load_dwordx2 v[9:10], v[9:10], off
.LBB27_5:
	s_or_b64 exec, exec, s[2:3]
	s_waitcnt vmcnt(0)
	v_mul_f64 v[5:6], v[5:6], v[9:10]
	s_load_dwordx2 s[20:21], s[4:5], 0x50
	v_and_b32_e32 v9, 64, v0
	v_lshlrev_b32_e32 v13, 3, v9
	v_cmp_lt_i32_e32 vcc, v7, v8
	v_mov_b32_e32 v10, s7
	s_and_saveexec_b64 s[22:23], vcc
	s_cbranch_execz .LBB27_26
; %bb.6:
	s_load_dwordx4 s[16:19], s[4:5], 0x18
	v_or_b32_e32 v14, 0x400, v9
	v_and_b32_e32 v0, 7, v0
	v_lshrrev_b32_e32 v9, 3, v4
	v_lshlrev_b32_e32 v10, 3, v4
	v_add_u32_e32 v16, v14, v10
	v_add_u32_e32 v17, v13, v10
	v_max_i32_e32 v10, v0, v9
	v_subrev_u32_e32 v15, s8, v8
	s_cmp_lg_u32 s10, 0
	v_lshl_add_u32 v8, v0, 3, v13
	v_cmp_gt_i32_e64 s[4:5], s33, v10
	v_lshlrev_b32_e32 v10, 6, v9
	v_subrev_u32_e32 v7, s8, v7
	s_cselect_b64 s[10:11], -1, 0
	v_cmp_gt_u32_e64 s[2:3], 8, v4
	s_mov_b64 s[24:25], 0
	s_waitcnt lgkmcnt(0)
	v_mov_b32_e32 v18, s17
	v_add_u32_e32 v19, v8, v10
	s_branch .LBB27_9
.LBB27_7:                               ;   in Loop: Header=BB27_9 Depth=1
	s_or_b64 exec, exec, s[6:7]
.LBB27_8:                               ;   in Loop: Header=BB27_9 Depth=1
	s_or_b64 exec, exec, s[26:27]
	v_add_u32_e32 v7, 1, v7
	v_cmp_ge_i32_e64 s[6:7], v7, v15
	s_xor_b64 s[26:27], vcc, -1
	s_or_b64 s[6:7], s[26:27], s[6:7]
	s_and_b64 s[6:7], exec, s[6:7]
	s_or_b64 s[24:25], s[6:7], s[24:25]
	s_andn2_b64 exec, exec, s[24:25]
	s_cbranch_execz .LBB27_25
.LBB27_9:                               ; =>This Loop Header: Depth=1
                                        ;     Child Loop BB27_17 Depth 2
	v_ashrrev_i32_e32 v8, 31, v7
	v_lshlrev_b64 v[10:11], 2, v[7:8]
	v_add_co_u32_e32 v10, vcc, s16, v10
	v_addc_co_u32_e32 v11, vcc, v18, v11, vcc
	global_load_dword v8, v[10:11], off
	v_mov_b32_e32 v11, 0
	v_mov_b32_e32 v12, 0
	s_and_saveexec_b64 s[6:7], s[4:5]
	s_cbranch_execz .LBB27_14
; %bb.10:                               ;   in Loop: Header=BB27_9 Depth=1
	v_mul_lo_u32 v12, v7, s33
	s_and_b64 vcc, exec, s[10:11]
	s_cbranch_vccz .LBB27_24
; %bb.11:                               ;   in Loop: Header=BB27_9 Depth=1
	v_add_u32_e32 v10, v12, v9
	v_mad_u64_u32 v[10:11], s[26:27], v10, s33, v[0:1]
	s_cbranch_execnz .LBB27_13
.LBB27_12:                              ;   in Loop: Header=BB27_9 Depth=1
	v_add_u32_e32 v10, v12, v0
	v_mad_u64_u32 v[10:11], s[26:27], v10, s33, v[9:10]
.LBB27_13:                              ;   in Loop: Header=BB27_9 Depth=1
	v_ashrrev_i32_e32 v11, 31, v10
	v_lshlrev_b64 v[10:11], 3, v[10:11]
	v_mov_b32_e32 v12, s19
	v_add_co_u32_e32 v10, vcc, s18, v10
	v_addc_co_u32_e32 v11, vcc, v12, v11, vcc
	global_load_dwordx2 v[11:12], v[10:11], off
.LBB27_14:                              ;   in Loop: Header=BB27_9 Depth=1
	s_or_b64 exec, exec, s[6:7]
	s_waitcnt vmcnt(0)
	v_subrev_u32_e32 v10, s8, v8
	v_cmp_lt_i32_e32 vcc, v10, v1
	ds_write_b64 v19, v[11:12]
	s_and_saveexec_b64 s[26:27], vcc
	s_cbranch_execz .LBB27_8
; %bb.15:                               ;   in Loop: Header=BB27_9 Depth=1
	v_ashrrev_i32_e32 v11, 31, v10
	v_lshlrev_b64 v[11:12], 2, v[10:11]
	v_mov_b32_e32 v8, s15
	v_add_co_u32_e64 v11, s[6:7], s14, v11
	v_addc_co_u32_e64 v12, s[6:7], v8, v12, s[6:7]
	global_load_dword v8, v[11:12], off glc
	s_waitcnt vmcnt(0)
	v_cmp_eq_u32_e64 s[6:7], 0, v8
	s_and_saveexec_b64 s[28:29], s[6:7]
	s_cbranch_execz .LBB27_18
; %bb.16:                               ;   in Loop: Header=BB27_9 Depth=1
	s_mov_b64 s[30:31], 0
.LBB27_17:                              ;   Parent Loop BB27_9 Depth=1
                                        ; =>  This Inner Loop Header: Depth=2
	global_load_dword v8, v[11:12], off glc
	s_waitcnt vmcnt(0)
	v_cmp_ne_u32_e64 s[6:7], 0, v8
	s_or_b64 s[30:31], s[6:7], s[30:31]
	s_andn2_b64 exec, exec, s[30:31]
	s_cbranch_execnz .LBB27_17
.LBB27_18:                              ;   in Loop: Header=BB27_9 Depth=1
	s_or_b64 exec, exec, s[28:29]
	s_waitcnt lgkmcnt(0)
	buffer_wbinvl1_vol
	s_and_saveexec_b64 s[28:29], s[2:3]
	s_cbranch_execz .LBB27_22
; %bb.19:                               ;   in Loop: Header=BB27_9 Depth=1
	v_mov_b32_e32 v11, 0
	v_mov_b32_e32 v12, 0
	s_and_saveexec_b64 s[30:31], s[0:1]
	s_cbranch_execz .LBB27_21
; %bb.20:                               ;   in Loop: Header=BB27_9 Depth=1
	v_mad_u64_u32 v[11:12], s[6:7], v10, s33, v[4:5]
	v_mov_b32_e32 v8, s13
	v_ashrrev_i32_e32 v12, 31, v11
	v_lshlrev_b64 v[11:12], 3, v[11:12]
	v_add_co_u32_e64 v11, s[6:7], s12, v11
	v_addc_co_u32_e64 v12, s[6:7], v8, v12, s[6:7]
	global_load_dwordx2 v[11:12], v[11:12], off
.LBB27_21:                              ;   in Loop: Header=BB27_9 Depth=1
	s_or_b64 exec, exec, s[30:31]
	s_waitcnt vmcnt(0)
	ds_write_b64 v16, v[11:12]
.LBB27_22:                              ;   in Loop: Header=BB27_9 Depth=1
	s_or_b64 exec, exec, s[28:29]
	s_waitcnt lgkmcnt(0)
	s_and_saveexec_b64 s[6:7], s[0:1]
	s_cbranch_execz .LBB27_7
; %bb.23:                               ;   in Loop: Header=BB27_9 Depth=1
	ds_read2_b64 v[20:23], v17 offset1:8
	ds_read_b128 v[24:27], v14
	ds_read_b128 v[28:31], v14 offset:16
	s_waitcnt lgkmcnt(1)
	v_fma_f64 v[5:6], -v[20:21], v[24:25], v[5:6]
	v_fma_f64 v[5:6], -v[22:23], v[26:27], v[5:6]
	ds_read2_b64 v[20:23], v17 offset0:16 offset1:24
	s_waitcnt lgkmcnt(0)
	v_fma_f64 v[5:6], -v[20:21], v[28:29], v[5:6]
	v_fma_f64 v[5:6], -v[22:23], v[30:31], v[5:6]
	ds_read2_b64 v[20:23], v17 offset0:32 offset1:40
	ds_read_b128 v[24:27], v14 offset:32
	ds_read_b128 v[28:31], v14 offset:48
	s_waitcnt lgkmcnt(1)
	v_fma_f64 v[5:6], -v[20:21], v[24:25], v[5:6]
	v_fma_f64 v[5:6], -v[22:23], v[26:27], v[5:6]
	ds_read2_b64 v[20:23], v17 offset0:48 offset1:56
	s_waitcnt lgkmcnt(0)
	v_fma_f64 v[5:6], -v[20:21], v[28:29], v[5:6]
	v_fma_f64 v[5:6], -v[22:23], v[30:31], v[5:6]
	s_branch .LBB27_7
.LBB27_24:                              ;   in Loop: Header=BB27_9 Depth=1
                                        ; implicit-def: $vgpr10
	s_branch .LBB27_12
.LBB27_25:
	s_or_b64 exec, exec, s[24:25]
.LBB27_26:
	s_or_b64 exec, exec, s[22:23]
	s_cmp_gt_i32 s33, 0
	v_cmp_eq_u32_e32 vcc, v10, v1
	s_cselect_b64 s[2:3], -1, 0
	s_mov_b32 s22, 0
	s_and_b64 s[4:5], s[2:3], vcc
	s_mov_b64 s[2:3], 0
	s_and_saveexec_b64 s[6:7], s[4:5]
	s_cbranch_execnz .LBB27_30
; %bb.27:
	s_or_b64 exec, exec, s[6:7]
	s_and_saveexec_b64 s[4:5], s[0:1]
	s_cbranch_execnz .LBB27_41
.LBB27_28:
	s_or_b64 exec, exec, s[4:5]
	v_cmp_eq_u32_e32 vcc, 0, v4
	s_and_b64 exec, exec, vcc
	s_cbranch_execnz .LBB27_42
.LBB27_29:
	s_endpgm
.LBB27_30:
	s_cmp_eq_u32 s9, 0
	v_mbcnt_lo_u32_b32 v0, -1, 0
	s_cselect_b64 s[2:3], -1, 0
	v_mbcnt_hi_u32_b32 v0, -1, v0
	v_cndmask_b32_e64 v7, 0, 1, s[2:3]
	v_and_b32_e32 v0, 64, v0
	v_lshl_add_u32 v11, v4, 3, v13
	s_mov_b64 s[10:11], 0
	v_cmp_ne_u32_e64 s[2:3], 1, v7
	s_branch .LBB27_33
.LBB27_31:                              ;   in Loop: Header=BB27_33 Depth=1
	s_or_b64 exec, exec, s[18:19]
.LBB27_32:                              ;   in Loop: Header=BB27_33 Depth=1
	s_or_b64 exec, exec, s[16:17]
	s_or_b64 s[10:11], s[4:5], s[10:11]
	s_add_i32 s22, s22, 1
	v_add_u32_e32 v11, 64, v11
	s_cmp_lg_u32 s33, s22
	v_add_u32_e32 v13, 0x48, v13
	s_cbranch_scc0 .LBB27_40
.LBB27_33:                              ; =>This Inner Loop Header: Depth=1
	v_mov_b32_e32 v7, 0
	v_mov_b32_e32 v8, 0x3ff00000
	s_and_b64 vcc, exec, s[2:3]
	s_cbranch_vccnz .LBB27_35
; %bb.34:                               ;   in Loop: Header=BB27_33 Depth=1
	ds_read_b64 v[7:8], v13
.LBB27_35:                              ;   in Loop: Header=BB27_33 Depth=1
	s_waitcnt lgkmcnt(0)
	v_cmp_eq_f64_e64 s[4:5], 0, v[7:8]
	v_and_or_b32 v9, s22, 63, v0
	v_lshlrev_b32_e32 v10, 2, v9
	ds_bpermute_b32 v9, v10, v5
	ds_bpermute_b32 v10, v10, v6
	s_and_saveexec_b64 s[16:17], s[0:1]
	s_cbranch_execz .LBB27_32
; %bb.36:                               ;   in Loop: Header=BB27_33 Depth=1
	s_waitcnt lgkmcnt(0)
	v_div_scale_f64 v[14:15], s[18:19], v[7:8], v[7:8], v[9:10]
	v_rcp_f64_e32 v[16:17], v[14:15]
	v_fma_f64 v[18:19], -v[14:15], v[16:17], 1.0
	v_fma_f64 v[16:17], v[16:17], v[18:19], v[16:17]
	v_div_scale_f64 v[18:19], vcc, v[9:10], v[7:8], v[9:10]
	v_fma_f64 v[20:21], -v[14:15], v[16:17], 1.0
	v_fma_f64 v[16:17], v[16:17], v[20:21], v[16:17]
	v_mul_f64 v[20:21], v[18:19], v[16:17]
	v_fma_f64 v[14:15], -v[14:15], v[20:21], v[18:19]
	v_div_fmas_f64 v[14:15], v[14:15], v[16:17], v[20:21]
	v_cmp_ge_u32_e32 vcc, s22, v4
	v_div_fixup_f64 v[7:8], v[14:15], v[7:8], v[9:10]
	v_cndmask_b32_e64 v8, v8, v10, s[4:5]
	v_cndmask_b32_e64 v7, v7, v9, s[4:5]
	s_and_saveexec_b64 s[18:19], vcc
	s_xor_b64 s[18:19], exec, s[18:19]
; %bb.37:                               ;   in Loop: Header=BB27_33 Depth=1
	v_cmp_eq_u32_e32 vcc, s22, v4
	v_cndmask_b32_e32 v6, v6, v8, vcc
	v_cndmask_b32_e32 v5, v5, v7, vcc
                                        ; implicit-def: $vgpr7_vgpr8
; %bb.38:                               ;   in Loop: Header=BB27_33 Depth=1
	s_andn2_saveexec_b64 s[18:19], s[18:19]
	s_cbranch_execz .LBB27_31
; %bb.39:                               ;   in Loop: Header=BB27_33 Depth=1
	ds_read_b64 v[9:10], v11
	s_waitcnt lgkmcnt(0)
	v_fma_f64 v[5:6], -v[7:8], v[9:10], v[5:6]
	s_branch .LBB27_31
.LBB27_40:
	s_and_b64 s[2:3], s[10:11], exec
	s_or_b64 exec, exec, s[6:7]
	s_and_saveexec_b64 s[4:5], s[0:1]
	s_cbranch_execz .LBB27_28
.LBB27_41:
	v_mad_u64_u32 v[7:8], s[0:1], v1, s33, v[4:5]
	v_mov_b32_e32 v0, s13
	v_ashrrev_i32_e32 v8, 31, v7
	v_lshlrev_b64 v[7:8], 3, v[7:8]
	v_add_co_u32_e32 v7, vcc, s12, v7
	v_addc_co_u32_e32 v8, vcc, v0, v8, vcc
	global_store_dwordx2 v[7:8], v[5:6], off
	s_or_b64 exec, exec, s[4:5]
	v_cmp_eq_u32_e32 vcc, 0, v4
	s_and_b64 exec, exec, vcc
	s_cbranch_execz .LBB27_29
.LBB27_42:
	v_mov_b32_e32 v0, s15
	v_add_co_u32_e32 v2, vcc, s14, v2
	v_addc_co_u32_e32 v3, vcc, v0, v3, vcc
	v_mov_b32_e32 v0, 1
	s_waitcnt vmcnt(0) lgkmcnt(0)
	global_store_dword v[2:3], v0, off
	s_and_b64 exec, exec, s[2:3]
	s_cbranch_execz .LBB27_29
; %bb.43:
	s_mov_b64 s[0:1], exec
	v_add_u32_e32 v0, s8, v1
	s_brev_b32 s2, -2
.LBB27_44:                              ; =>This Inner Loop Header: Depth=1
	s_ff1_i32_b64 s3, s[0:1]
	v_readlane_b32 s6, v0, s3
	s_lshl_b64 s[4:5], 1, s3
	s_min_i32 s2, s2, s6
	s_andn2_b64 s[0:1], s[0:1], s[4:5]
	s_cmp_lg_u64 s[0:1], 0
	s_cbranch_scc1 .LBB27_44
; %bb.45:
	v_mbcnt_lo_u32_b32 v0, exec_lo, 0
	v_mbcnt_hi_u32_b32 v0, exec_hi, v0
	v_cmp_eq_u32_e32 vcc, 0, v0
	s_and_saveexec_b64 s[0:1], vcc
	s_xor_b64 s[0:1], exec, s[0:1]
	s_cbranch_execz .LBB27_29
; %bb.46:
	v_mov_b32_e32 v0, 0
	v_mov_b32_e32 v1, s2
	global_atomic_smin v0, v1, s[20:21]
	s_endpgm
	.section	.rodata,"a",@progbits
	.p2align	6, 0x0
	.amdhsa_kernel _ZN9rocsparseL18bsrsv_lower_sharedILj128ELj64ELi8ELb0EdEEviNS_24const_host_device_scalarIT3_EEPKiS5_PKS2_iS7_PS2_PiS9_S9_21rocsparse_index_base_20rocsparse_diag_type_20rocsparse_direction_b
		.amdhsa_group_segment_fixed_size 1152
		.amdhsa_private_segment_fixed_size 0
		.amdhsa_kernarg_size 104
		.amdhsa_user_sgpr_count 6
		.amdhsa_user_sgpr_private_segment_buffer 1
		.amdhsa_user_sgpr_dispatch_ptr 0
		.amdhsa_user_sgpr_queue_ptr 0
		.amdhsa_user_sgpr_kernarg_segment_ptr 1
		.amdhsa_user_sgpr_dispatch_id 0
		.amdhsa_user_sgpr_flat_scratch_init 0
		.amdhsa_user_sgpr_private_segment_size 0
		.amdhsa_uses_dynamic_stack 0
		.amdhsa_system_sgpr_private_segment_wavefront_offset 0
		.amdhsa_system_sgpr_workgroup_id_x 1
		.amdhsa_system_sgpr_workgroup_id_y 0
		.amdhsa_system_sgpr_workgroup_id_z 0
		.amdhsa_system_sgpr_workgroup_info 0
		.amdhsa_system_vgpr_workitem_id 0
		.amdhsa_next_free_vgpr 32
		.amdhsa_next_free_sgpr 34
		.amdhsa_reserve_vcc 1
		.amdhsa_reserve_flat_scratch 0
		.amdhsa_float_round_mode_32 0
		.amdhsa_float_round_mode_16_64 0
		.amdhsa_float_denorm_mode_32 3
		.amdhsa_float_denorm_mode_16_64 3
		.amdhsa_dx10_clamp 1
		.amdhsa_ieee_mode 1
		.amdhsa_fp16_overflow 0
		.amdhsa_exception_fp_ieee_invalid_op 0
		.amdhsa_exception_fp_denorm_src 0
		.amdhsa_exception_fp_ieee_div_zero 0
		.amdhsa_exception_fp_ieee_overflow 0
		.amdhsa_exception_fp_ieee_underflow 0
		.amdhsa_exception_fp_ieee_inexact 0
		.amdhsa_exception_int_div_zero 0
	.end_amdhsa_kernel
	.section	.text._ZN9rocsparseL18bsrsv_lower_sharedILj128ELj64ELi8ELb0EdEEviNS_24const_host_device_scalarIT3_EEPKiS5_PKS2_iS7_PS2_PiS9_S9_21rocsparse_index_base_20rocsparse_diag_type_20rocsparse_direction_b,"axG",@progbits,_ZN9rocsparseL18bsrsv_lower_sharedILj128ELj64ELi8ELb0EdEEviNS_24const_host_device_scalarIT3_EEPKiS5_PKS2_iS7_PS2_PiS9_S9_21rocsparse_index_base_20rocsparse_diag_type_20rocsparse_direction_b,comdat
.Lfunc_end27:
	.size	_ZN9rocsparseL18bsrsv_lower_sharedILj128ELj64ELi8ELb0EdEEviNS_24const_host_device_scalarIT3_EEPKiS5_PKS2_iS7_PS2_PiS9_S9_21rocsparse_index_base_20rocsparse_diag_type_20rocsparse_direction_b, .Lfunc_end27-_ZN9rocsparseL18bsrsv_lower_sharedILj128ELj64ELi8ELb0EdEEviNS_24const_host_device_scalarIT3_EEPKiS5_PKS2_iS7_PS2_PiS9_S9_21rocsparse_index_base_20rocsparse_diag_type_20rocsparse_direction_b
                                        ; -- End function
	.set _ZN9rocsparseL18bsrsv_lower_sharedILj128ELj64ELi8ELb0EdEEviNS_24const_host_device_scalarIT3_EEPKiS5_PKS2_iS7_PS2_PiS9_S9_21rocsparse_index_base_20rocsparse_diag_type_20rocsparse_direction_b.num_vgpr, 32
	.set _ZN9rocsparseL18bsrsv_lower_sharedILj128ELj64ELi8ELb0EdEEviNS_24const_host_device_scalarIT3_EEPKiS5_PKS2_iS7_PS2_PiS9_S9_21rocsparse_index_base_20rocsparse_diag_type_20rocsparse_direction_b.num_agpr, 0
	.set _ZN9rocsparseL18bsrsv_lower_sharedILj128ELj64ELi8ELb0EdEEviNS_24const_host_device_scalarIT3_EEPKiS5_PKS2_iS7_PS2_PiS9_S9_21rocsparse_index_base_20rocsparse_diag_type_20rocsparse_direction_b.numbered_sgpr, 34
	.set _ZN9rocsparseL18bsrsv_lower_sharedILj128ELj64ELi8ELb0EdEEviNS_24const_host_device_scalarIT3_EEPKiS5_PKS2_iS7_PS2_PiS9_S9_21rocsparse_index_base_20rocsparse_diag_type_20rocsparse_direction_b.num_named_barrier, 0
	.set _ZN9rocsparseL18bsrsv_lower_sharedILj128ELj64ELi8ELb0EdEEviNS_24const_host_device_scalarIT3_EEPKiS5_PKS2_iS7_PS2_PiS9_S9_21rocsparse_index_base_20rocsparse_diag_type_20rocsparse_direction_b.private_seg_size, 0
	.set _ZN9rocsparseL18bsrsv_lower_sharedILj128ELj64ELi8ELb0EdEEviNS_24const_host_device_scalarIT3_EEPKiS5_PKS2_iS7_PS2_PiS9_S9_21rocsparse_index_base_20rocsparse_diag_type_20rocsparse_direction_b.uses_vcc, 1
	.set _ZN9rocsparseL18bsrsv_lower_sharedILj128ELj64ELi8ELb0EdEEviNS_24const_host_device_scalarIT3_EEPKiS5_PKS2_iS7_PS2_PiS9_S9_21rocsparse_index_base_20rocsparse_diag_type_20rocsparse_direction_b.uses_flat_scratch, 0
	.set _ZN9rocsparseL18bsrsv_lower_sharedILj128ELj64ELi8ELb0EdEEviNS_24const_host_device_scalarIT3_EEPKiS5_PKS2_iS7_PS2_PiS9_S9_21rocsparse_index_base_20rocsparse_diag_type_20rocsparse_direction_b.has_dyn_sized_stack, 0
	.set _ZN9rocsparseL18bsrsv_lower_sharedILj128ELj64ELi8ELb0EdEEviNS_24const_host_device_scalarIT3_EEPKiS5_PKS2_iS7_PS2_PiS9_S9_21rocsparse_index_base_20rocsparse_diag_type_20rocsparse_direction_b.has_recursion, 0
	.set _ZN9rocsparseL18bsrsv_lower_sharedILj128ELj64ELi8ELb0EdEEviNS_24const_host_device_scalarIT3_EEPKiS5_PKS2_iS7_PS2_PiS9_S9_21rocsparse_index_base_20rocsparse_diag_type_20rocsparse_direction_b.has_indirect_call, 0
	.section	.AMDGPU.csdata,"",@progbits
; Kernel info:
; codeLenInByte = 1596
; TotalNumSgprs: 38
; NumVgprs: 32
; ScratchSize: 0
; MemoryBound: 0
; FloatMode: 240
; IeeeMode: 1
; LDSByteSize: 1152 bytes/workgroup (compile time only)
; SGPRBlocks: 4
; VGPRBlocks: 7
; NumSGPRsForWavesPerEU: 38
; NumVGPRsForWavesPerEU: 32
; Occupancy: 8
; WaveLimiterHint : 1
; COMPUTE_PGM_RSRC2:SCRATCH_EN: 0
; COMPUTE_PGM_RSRC2:USER_SGPR: 6
; COMPUTE_PGM_RSRC2:TRAP_HANDLER: 0
; COMPUTE_PGM_RSRC2:TGID_X_EN: 1
; COMPUTE_PGM_RSRC2:TGID_Y_EN: 0
; COMPUTE_PGM_RSRC2:TGID_Z_EN: 0
; COMPUTE_PGM_RSRC2:TIDIG_COMP_CNT: 0
	.section	.text._ZN9rocsparseL18bsrsv_upper_sharedILj128ELj64ELi8ELb1EdEEviNS_24const_host_device_scalarIT3_EEPKiS5_PKS2_iS7_PS2_PiS9_S9_21rocsparse_index_base_20rocsparse_diag_type_20rocsparse_direction_b,"axG",@progbits,_ZN9rocsparseL18bsrsv_upper_sharedILj128ELj64ELi8ELb1EdEEviNS_24const_host_device_scalarIT3_EEPKiS5_PKS2_iS7_PS2_PiS9_S9_21rocsparse_index_base_20rocsparse_diag_type_20rocsparse_direction_b,comdat
	.globl	_ZN9rocsparseL18bsrsv_upper_sharedILj128ELj64ELi8ELb1EdEEviNS_24const_host_device_scalarIT3_EEPKiS5_PKS2_iS7_PS2_PiS9_S9_21rocsparse_index_base_20rocsparse_diag_type_20rocsparse_direction_b ; -- Begin function _ZN9rocsparseL18bsrsv_upper_sharedILj128ELj64ELi8ELb1EdEEviNS_24const_host_device_scalarIT3_EEPKiS5_PKS2_iS7_PS2_PiS9_S9_21rocsparse_index_base_20rocsparse_diag_type_20rocsparse_direction_b
	.p2align	8
	.type	_ZN9rocsparseL18bsrsv_upper_sharedILj128ELj64ELi8ELb1EdEEviNS_24const_host_device_scalarIT3_EEPKiS5_PKS2_iS7_PS2_PiS9_S9_21rocsparse_index_base_20rocsparse_diag_type_20rocsparse_direction_b,@function
_ZN9rocsparseL18bsrsv_upper_sharedILj128ELj64ELi8ELb1EdEEviNS_24const_host_device_scalarIT3_EEPKiS5_PKS2_iS7_PS2_PiS9_S9_21rocsparse_index_base_20rocsparse_diag_type_20rocsparse_direction_b: ; @_ZN9rocsparseL18bsrsv_upper_sharedILj128ELj64ELi8ELb1EdEEviNS_24const_host_device_scalarIT3_EEPKiS5_PKS2_iS7_PS2_PiS9_S9_21rocsparse_index_base_20rocsparse_diag_type_20rocsparse_direction_b
; %bb.0:
	s_load_dwordx4 s[8:11], s[4:5], 0x58
	s_load_dwordx2 s[0:1], s[4:5], 0x8
	s_waitcnt lgkmcnt(0)
	s_bitcmp1_b32 s11, 0
	s_cselect_b64 s[2:3], -1, 0
	v_mov_b32_e32 v6, s1
	s_and_b64 vcc, exec, s[2:3]
	v_mov_b32_e32 v5, s0
	s_cbranch_vccnz .LBB28_2
; %bb.1:
	v_mov_b32_e32 v2, s1
	v_mov_b32_e32 v1, s0
	flat_load_dwordx2 v[5:6], v[1:2]
.LBB28_2:
	s_load_dword s7, s[4:5], 0x0
	s_lshl_b32 s0, s6, 1
	v_lshrrev_b32_e32 v13, 6, v0
	s_and_b32 s0, s0, 0x3fffffe
	v_or_b32_e32 v1, s0, v13
	s_waitcnt lgkmcnt(0)
	v_cmp_gt_i32_e32 vcc, s7, v1
	s_and_saveexec_b64 s[0:1], vcc
	s_cbranch_execz .LBB28_31
; %bb.3:
	s_load_dwordx2 s[0:1], s[4:5], 0x48
	s_load_dwordx4 s[12:15], s[4:5], 0x38
	v_lshlrev_b32_e32 v1, 2, v1
	v_mov_b32_e32 v9, 0
	v_mov_b32_e32 v10, 0
	s_waitcnt lgkmcnt(0)
	global_load_dword v1, v1, s[0:1]
	s_load_dwordx2 s[0:1], s[4:5], 0x10
	s_load_dword s33, s[4:5], 0x28
	s_waitcnt lgkmcnt(0)
	v_mov_b32_e32 v4, s1
	s_waitcnt vmcnt(0)
	v_ashrrev_i32_e32 v2, 31, v1
	v_lshlrev_b64 v[2:3], 2, v[1:2]
	v_add_co_u32_e32 v7, vcc, s0, v2
	v_addc_co_u32_e32 v8, vcc, v4, v3, vcc
	global_load_dwordx2 v[7:8], v[7:8], off
	v_and_b32_e32 v4, 63, v0
	v_cmp_gt_i32_e64 s[0:1], s33, v4
	s_and_saveexec_b64 s[2:3], s[0:1]
	s_cbranch_execz .LBB28_5
; %bb.4:
	v_mad_u64_u32 v[9:10], s[16:17], v1, s33, v[4:5]
	s_load_dwordx2 s[16:17], s[4:5], 0x30
	v_ashrrev_i32_e32 v10, 31, v9
	v_lshlrev_b64 v[9:10], 3, v[9:10]
	s_waitcnt lgkmcnt(0)
	v_mov_b32_e32 v11, s17
	v_add_co_u32_e32 v9, vcc, s16, v9
	v_addc_co_u32_e32 v10, vcc, v11, v10, vcc
	global_load_dwordx2 v[9:10], v[9:10], off
.LBB28_5:
	s_or_b64 exec, exec, s[2:3]
	s_waitcnt vmcnt(0)
	v_mul_f64 v[5:6], v[5:6], v[9:10]
	s_load_dwordx2 s[20:21], s[4:5], 0x50
	v_subrev_u32_e32 v15, s8, v7
	v_xad_u32 v7, s8, -1, v8
	v_cmp_ge_i32_e32 vcc, v7, v15
	v_mov_b32_e32 v10, s7
	v_lshlrev_b32_e32 v14, 3, v4
	s_and_saveexec_b64 s[22:23], vcc
	s_cbranch_execz .LBB28_28
; %bb.6:
	s_load_dwordx4 s[16:19], s[4:5], 0x18
	v_and_b32_e32 v8, 64, v0
	v_lshlrev_b32_e32 v10, 3, v8
	v_and_b32_e32 v0, 7, v0
	v_lshrrev_b32_e32 v9, 3, v4
	v_or_b32_e32 v16, 0x400, v8
	v_lshl_or_b32 v8, v0, 3, v10
	v_or_b32_e32 v18, v10, v14
	v_max_i32_e32 v10, v0, v9
	s_cmp_lg_u32 s10, 0
	v_cmp_gt_i32_e64 s[4:5], s33, v10
	v_lshlrev_b32_e32 v10, 6, v9
	s_cselect_b64 s[10:11], -1, 0
	v_cmp_gt_u32_e64 s[2:3], 8, v4
	v_add_u32_e32 v17, v16, v14
	s_mov_b64 s[24:25], 0
	s_waitcnt lgkmcnt(0)
	v_mov_b32_e32 v19, s17
	v_add_u32_e32 v20, v8, v10
	s_branch .LBB28_9
.LBB28_7:                               ;   in Loop: Header=BB28_9 Depth=1
	s_or_b64 exec, exec, s[6:7]
.LBB28_8:                               ;   in Loop: Header=BB28_9 Depth=1
	s_or_b64 exec, exec, s[26:27]
	v_cmp_le_i32_e64 s[6:7], v7, v15
	s_xor_b64 s[26:27], vcc, -1
	s_or_b64 s[6:7], s[26:27], s[6:7]
	v_add_u32_e32 v8, -1, v7
	s_and_b64 s[6:7], exec, s[6:7]
	s_or_b64 s[24:25], s[6:7], s[24:25]
	v_mov_b32_e32 v7, v8
	s_andn2_b64 exec, exec, s[24:25]
	s_cbranch_execz .LBB28_27
.LBB28_9:                               ; =>This Loop Header: Depth=1
                                        ;     Child Loop BB28_18 Depth 2
                                        ;       Child Loop BB28_19 Depth 3
	v_ashrrev_i32_e32 v8, 31, v7
	v_lshlrev_b64 v[10:11], 2, v[7:8]
	v_add_co_u32_e32 v10, vcc, s16, v10
	v_addc_co_u32_e32 v11, vcc, v19, v11, vcc
	global_load_dword v8, v[10:11], off
	v_mov_b32_e32 v11, 0
	v_mov_b32_e32 v12, 0
	s_and_saveexec_b64 s[6:7], s[4:5]
	s_cbranch_execz .LBB28_14
; %bb.10:                               ;   in Loop: Header=BB28_9 Depth=1
	v_mul_lo_u32 v12, v7, s33
	s_and_b64 vcc, exec, s[10:11]
	s_cbranch_vccz .LBB28_26
; %bb.11:                               ;   in Loop: Header=BB28_9 Depth=1
	v_add_u32_e32 v10, v12, v9
	v_mad_u64_u32 v[10:11], s[26:27], v10, s33, v[0:1]
	s_cbranch_execnz .LBB28_13
.LBB28_12:                              ;   in Loop: Header=BB28_9 Depth=1
	v_add_u32_e32 v10, v12, v0
	v_mad_u64_u32 v[10:11], s[26:27], v10, s33, v[9:10]
.LBB28_13:                              ;   in Loop: Header=BB28_9 Depth=1
	v_ashrrev_i32_e32 v11, 31, v10
	v_lshlrev_b64 v[10:11], 3, v[10:11]
	v_mov_b32_e32 v12, s19
	v_add_co_u32_e32 v10, vcc, s18, v10
	v_addc_co_u32_e32 v11, vcc, v12, v11, vcc
	global_load_dwordx2 v[11:12], v[10:11], off
.LBB28_14:                              ;   in Loop: Header=BB28_9 Depth=1
	s_or_b64 exec, exec, s[6:7]
	s_waitcnt vmcnt(0)
	v_subrev_u32_e32 v10, s8, v8
	v_cmp_gt_i32_e32 vcc, v10, v1
	ds_write_b64 v20, v[11:12]
	s_and_saveexec_b64 s[26:27], vcc
	s_cbranch_execz .LBB28_8
; %bb.15:                               ;   in Loop: Header=BB28_9 Depth=1
	v_ashrrev_i32_e32 v11, 31, v10
	v_lshlrev_b64 v[11:12], 2, v[10:11]
	v_mov_b32_e32 v8, s15
	v_add_co_u32_e64 v11, s[6:7], s14, v11
	v_addc_co_u32_e64 v12, s[6:7], v8, v12, s[6:7]
	global_load_dword v8, v[11:12], off glc
	s_waitcnt vmcnt(0)
	v_cmp_eq_u32_e64 s[6:7], 0, v8
	s_and_saveexec_b64 s[28:29], s[6:7]
	s_cbranch_execz .LBB28_20
; %bb.16:                               ;   in Loop: Header=BB28_9 Depth=1
	s_mov_b32 s17, 0
	s_mov_b64 s[30:31], 0
	s_branch .LBB28_18
.LBB28_17:                              ;   in Loop: Header=BB28_18 Depth=2
	global_load_dword v8, v[11:12], off glc
	s_cmpk_lt_u32 s17, 0xf43
	s_cselect_b64 s[6:7], -1, 0
	s_cmp_lg_u64 s[6:7], 0
	s_addc_u32 s17, s17, 0
	s_waitcnt vmcnt(0)
	v_cmp_ne_u32_e64 s[6:7], 0, v8
	s_or_b64 s[30:31], s[6:7], s[30:31]
	s_andn2_b64 exec, exec, s[30:31]
	s_cbranch_execz .LBB28_20
.LBB28_18:                              ;   Parent Loop BB28_9 Depth=1
                                        ; =>  This Loop Header: Depth=2
                                        ;       Child Loop BB28_19 Depth 3
	s_cmp_eq_u32 s17, 0
	s_mov_b32 s6, s17
	s_cbranch_scc1 .LBB28_17
.LBB28_19:                              ;   Parent Loop BB28_9 Depth=1
                                        ;     Parent Loop BB28_18 Depth=2
                                        ; =>    This Inner Loop Header: Depth=3
	s_add_i32 s6, s6, -1
	s_cmp_eq_u32 s6, 0
	s_sleep 1
	s_cbranch_scc0 .LBB28_19
	s_branch .LBB28_17
.LBB28_20:                              ;   in Loop: Header=BB28_9 Depth=1
	s_or_b64 exec, exec, s[28:29]
	s_waitcnt lgkmcnt(0)
	buffer_wbinvl1_vol
	s_and_saveexec_b64 s[28:29], s[2:3]
	s_cbranch_execz .LBB28_24
; %bb.21:                               ;   in Loop: Header=BB28_9 Depth=1
	v_mov_b32_e32 v11, 0
	v_mov_b32_e32 v12, 0
	s_and_saveexec_b64 s[30:31], s[0:1]
	s_cbranch_execz .LBB28_23
; %bb.22:                               ;   in Loop: Header=BB28_9 Depth=1
	v_mad_u64_u32 v[11:12], s[6:7], v10, s33, v[4:5]
	v_mov_b32_e32 v8, s13
	v_ashrrev_i32_e32 v12, 31, v11
	v_lshlrev_b64 v[11:12], 3, v[11:12]
	v_add_co_u32_e64 v11, s[6:7], s12, v11
	v_addc_co_u32_e64 v12, s[6:7], v8, v12, s[6:7]
	global_load_dwordx2 v[11:12], v[11:12], off
.LBB28_23:                              ;   in Loop: Header=BB28_9 Depth=1
	s_or_b64 exec, exec, s[30:31]
	s_waitcnt vmcnt(0)
	ds_write_b64 v17, v[11:12]
.LBB28_24:                              ;   in Loop: Header=BB28_9 Depth=1
	s_or_b64 exec, exec, s[28:29]
	s_waitcnt lgkmcnt(0)
	s_and_saveexec_b64 s[6:7], s[0:1]
	s_cbranch_execz .LBB28_7
; %bb.25:                               ;   in Loop: Header=BB28_9 Depth=1
	ds_read2_b64 v[21:24], v18 offset1:8
	ds_read_b128 v[25:28], v16
	ds_read_b128 v[29:32], v16 offset:16
	s_waitcnt lgkmcnt(1)
	v_fma_f64 v[5:6], -v[21:22], v[25:26], v[5:6]
	v_fma_f64 v[5:6], -v[23:24], v[27:28], v[5:6]
	ds_read2_b64 v[21:24], v18 offset0:16 offset1:24
	s_waitcnt lgkmcnt(0)
	v_fma_f64 v[5:6], -v[21:22], v[29:30], v[5:6]
	v_fma_f64 v[5:6], -v[23:24], v[31:32], v[5:6]
	ds_read2_b64 v[21:24], v18 offset0:32 offset1:40
	ds_read_b128 v[25:28], v16 offset:32
	ds_read_b128 v[29:32], v16 offset:48
	s_waitcnt lgkmcnt(1)
	v_fma_f64 v[5:6], -v[21:22], v[25:26], v[5:6]
	v_fma_f64 v[5:6], -v[23:24], v[27:28], v[5:6]
	ds_read2_b64 v[21:24], v18 offset0:48 offset1:56
	s_waitcnt lgkmcnt(0)
	v_fma_f64 v[5:6], -v[21:22], v[29:30], v[5:6]
	v_fma_f64 v[5:6], -v[23:24], v[31:32], v[5:6]
	s_branch .LBB28_7
.LBB28_26:                              ;   in Loop: Header=BB28_9 Depth=1
                                        ; implicit-def: $vgpr10
	s_branch .LBB28_12
.LBB28_27:
	s_or_b64 exec, exec, s[24:25]
.LBB28_28:
	s_or_b64 exec, exec, s[22:23]
	s_cmp_gt_i32 s33, 0
	v_cmp_eq_u32_e32 vcc, v10, v1
	s_cselect_b64 s[2:3], -1, 0
	s_and_b64 s[4:5], s[2:3], vcc
	s_mov_b64 s[2:3], 0
	s_and_saveexec_b64 s[6:7], s[4:5]
	s_cbranch_execnz .LBB28_32
; %bb.29:
	s_or_b64 exec, exec, s[6:7]
	s_and_saveexec_b64 s[4:5], s[0:1]
	s_cbranch_execnz .LBB28_43
.LBB28_30:
	s_or_b64 exec, exec, s[4:5]
	v_cmp_eq_u32_e32 vcc, 0, v4
	s_and_b64 exec, exec, vcc
	s_cbranch_execnz .LBB28_44
.LBB28_31:
	s_endpgm
.LBB28_32:
	v_lshlrev_b32_e32 v7, 9, v13
	v_lshl_add_u32 v8, s33, 6, v7
	s_movk_i32 s4, 0xffc0
	s_cmp_eq_u32 s9, 0
	v_add3_u32 v11, v8, v14, s4
	s_mul_i32 s4, s33, 0x48
	s_cselect_b64 s[2:3], -1, 0
	v_mbcnt_lo_u32_b32 v0, -1, 0
	v_add_u32_e32 v7, s4, v7
	v_mbcnt_hi_u32_b32 v0, -1, v0
	v_add_u32_e32 v12, 0xffffffb8, v7
	v_cndmask_b32_e64 v7, 0, 1, s[2:3]
	v_and_b32_e32 v0, 64, v0
	s_add_i32 s9, s33, -1
	s_mov_b64 s[10:11], 0
	v_cmp_ne_u32_e64 s[2:3], 1, v7
	v_mov_b32_e32 v7, 0
	v_mov_b32_e32 v8, 0x3ff00000
	s_and_b64 vcc, exec, s[2:3]
	s_cbranch_vccnz .LBB28_34
.LBB28_33:
	ds_read_b64 v[7:8], v12
.LBB28_34:                              ; =>This Inner Loop Header: Depth=1
	s_waitcnt lgkmcnt(0)
	v_cmp_eq_f64_e64 s[4:5], 0, v[7:8]
	v_and_or_b32 v9, s9, 63, v0
	v_lshlrev_b32_e32 v10, 2, v9
	ds_bpermute_b32 v9, v10, v5
	ds_bpermute_b32 v10, v10, v6
	s_and_saveexec_b64 s[16:17], s[0:1]
	s_cbranch_execz .LBB28_40
; %bb.35:                               ;   in Loop: Header=BB28_34 Depth=1
	s_waitcnt lgkmcnt(0)
	v_div_scale_f64 v[13:14], s[18:19], v[7:8], v[7:8], v[9:10]
	v_rcp_f64_e32 v[15:16], v[13:14]
	v_fma_f64 v[17:18], -v[13:14], v[15:16], 1.0
	v_fma_f64 v[15:16], v[15:16], v[17:18], v[15:16]
	v_div_scale_f64 v[17:18], vcc, v[9:10], v[7:8], v[9:10]
	v_fma_f64 v[19:20], -v[13:14], v[15:16], 1.0
	v_fma_f64 v[15:16], v[15:16], v[19:20], v[15:16]
	v_mul_f64 v[19:20], v[17:18], v[15:16]
	v_fma_f64 v[13:14], -v[13:14], v[19:20], v[17:18]
	v_div_fmas_f64 v[13:14], v[13:14], v[15:16], v[19:20]
	v_cmp_le_i32_e32 vcc, s9, v4
	v_div_fixup_f64 v[7:8], v[13:14], v[7:8], v[9:10]
	v_cndmask_b32_e64 v8, v8, v10, s[4:5]
	v_cndmask_b32_e64 v7, v7, v9, s[4:5]
	s_and_saveexec_b64 s[18:19], vcc
	s_xor_b64 s[18:19], exec, s[18:19]
; %bb.36:                               ;   in Loop: Header=BB28_34 Depth=1
	v_cmp_eq_u32_e32 vcc, s9, v4
	v_cndmask_b32_e32 v6, v6, v8, vcc
	v_cndmask_b32_e32 v5, v5, v7, vcc
                                        ; implicit-def: $vgpr7_vgpr8
; %bb.37:                               ;   in Loop: Header=BB28_34 Depth=1
	s_andn2_saveexec_b64 s[18:19], s[18:19]
	s_cbranch_execz .LBB28_39
; %bb.38:                               ;   in Loop: Header=BB28_34 Depth=1
	ds_read_b64 v[9:10], v11
	s_waitcnt lgkmcnt(0)
	v_fma_f64 v[5:6], -v[7:8], v[9:10], v[5:6]
.LBB28_39:                              ;   in Loop: Header=BB28_34 Depth=1
	s_or_b64 exec, exec, s[18:19]
.LBB28_40:                              ;   in Loop: Header=BB28_34 Depth=1
	s_or_b64 exec, exec, s[16:17]
	s_or_b64 s[10:11], s[4:5], s[10:11]
	s_add_i32 s4, s9, -1
	s_add_i32 s5, s9, 1
	v_subrev_u32_e32 v11, 64, v11
	s_cmp_gt_u32 s5, 1
	v_add_u32_e32 v12, 0xffffffb8, v12
	s_cbranch_scc0 .LBB28_42
; %bb.41:                               ;   in Loop: Header=BB28_34 Depth=1
	s_mov_b32 s9, s4
	v_mov_b32_e32 v7, 0
	v_mov_b32_e32 v8, 0x3ff00000
	s_and_b64 vcc, exec, s[2:3]
	s_cbranch_vccnz .LBB28_34
	s_branch .LBB28_33
.LBB28_42:
	s_and_b64 s[2:3], s[10:11], exec
	s_or_b64 exec, exec, s[6:7]
	s_and_saveexec_b64 s[4:5], s[0:1]
	s_cbranch_execz .LBB28_30
.LBB28_43:
	v_mad_u64_u32 v[7:8], s[0:1], v1, s33, v[4:5]
	v_mov_b32_e32 v0, s13
	v_ashrrev_i32_e32 v8, 31, v7
	v_lshlrev_b64 v[7:8], 3, v[7:8]
	v_add_co_u32_e32 v7, vcc, s12, v7
	v_addc_co_u32_e32 v8, vcc, v0, v8, vcc
	global_store_dwordx2 v[7:8], v[5:6], off
	s_or_b64 exec, exec, s[4:5]
	v_cmp_eq_u32_e32 vcc, 0, v4
	s_and_b64 exec, exec, vcc
	s_cbranch_execz .LBB28_31
.LBB28_44:
	v_mov_b32_e32 v0, s15
	v_add_co_u32_e32 v2, vcc, s14, v2
	v_addc_co_u32_e32 v3, vcc, v0, v3, vcc
	v_mov_b32_e32 v0, 1
	s_waitcnt vmcnt(0) lgkmcnt(0)
	global_store_dword v[2:3], v0, off
	s_and_b64 exec, exec, s[2:3]
	s_cbranch_execz .LBB28_31
; %bb.45:
	s_mov_b64 s[0:1], exec
	v_add_u32_e32 v0, s8, v1
	s_brev_b32 s2, -2
.LBB28_46:                              ; =>This Inner Loop Header: Depth=1
	s_ff1_i32_b64 s3, s[0:1]
	v_readlane_b32 s6, v0, s3
	s_lshl_b64 s[4:5], 1, s3
	s_min_i32 s2, s2, s6
	s_andn2_b64 s[0:1], s[0:1], s[4:5]
	s_cmp_lg_u64 s[0:1], 0
	s_cbranch_scc1 .LBB28_46
; %bb.47:
	v_mbcnt_lo_u32_b32 v0, exec_lo, 0
	v_mbcnt_hi_u32_b32 v0, exec_hi, v0
	v_cmp_eq_u32_e32 vcc, 0, v0
	s_and_saveexec_b64 s[0:1], vcc
	s_xor_b64 s[0:1], exec, s[0:1]
	s_cbranch_execz .LBB28_31
; %bb.48:
	v_mov_b32_e32 v0, 0
	v_mov_b32_e32 v1, s2
	global_atomic_smin v0, v1, s[20:21]
	s_endpgm
	.section	.rodata,"a",@progbits
	.p2align	6, 0x0
	.amdhsa_kernel _ZN9rocsparseL18bsrsv_upper_sharedILj128ELj64ELi8ELb1EdEEviNS_24const_host_device_scalarIT3_EEPKiS5_PKS2_iS7_PS2_PiS9_S9_21rocsparse_index_base_20rocsparse_diag_type_20rocsparse_direction_b
		.amdhsa_group_segment_fixed_size 1152
		.amdhsa_private_segment_fixed_size 0
		.amdhsa_kernarg_size 104
		.amdhsa_user_sgpr_count 6
		.amdhsa_user_sgpr_private_segment_buffer 1
		.amdhsa_user_sgpr_dispatch_ptr 0
		.amdhsa_user_sgpr_queue_ptr 0
		.amdhsa_user_sgpr_kernarg_segment_ptr 1
		.amdhsa_user_sgpr_dispatch_id 0
		.amdhsa_user_sgpr_flat_scratch_init 0
		.amdhsa_user_sgpr_private_segment_size 0
		.amdhsa_uses_dynamic_stack 0
		.amdhsa_system_sgpr_private_segment_wavefront_offset 0
		.amdhsa_system_sgpr_workgroup_id_x 1
		.amdhsa_system_sgpr_workgroup_id_y 0
		.amdhsa_system_sgpr_workgroup_id_z 0
		.amdhsa_system_sgpr_workgroup_info 0
		.amdhsa_system_vgpr_workitem_id 0
		.amdhsa_next_free_vgpr 33
		.amdhsa_next_free_sgpr 34
		.amdhsa_reserve_vcc 1
		.amdhsa_reserve_flat_scratch 0
		.amdhsa_float_round_mode_32 0
		.amdhsa_float_round_mode_16_64 0
		.amdhsa_float_denorm_mode_32 3
		.amdhsa_float_denorm_mode_16_64 3
		.amdhsa_dx10_clamp 1
		.amdhsa_ieee_mode 1
		.amdhsa_fp16_overflow 0
		.amdhsa_exception_fp_ieee_invalid_op 0
		.amdhsa_exception_fp_denorm_src 0
		.amdhsa_exception_fp_ieee_div_zero 0
		.amdhsa_exception_fp_ieee_overflow 0
		.amdhsa_exception_fp_ieee_underflow 0
		.amdhsa_exception_fp_ieee_inexact 0
		.amdhsa_exception_int_div_zero 0
	.end_amdhsa_kernel
	.section	.text._ZN9rocsparseL18bsrsv_upper_sharedILj128ELj64ELi8ELb1EdEEviNS_24const_host_device_scalarIT3_EEPKiS5_PKS2_iS7_PS2_PiS9_S9_21rocsparse_index_base_20rocsparse_diag_type_20rocsparse_direction_b,"axG",@progbits,_ZN9rocsparseL18bsrsv_upper_sharedILj128ELj64ELi8ELb1EdEEviNS_24const_host_device_scalarIT3_EEPKiS5_PKS2_iS7_PS2_PiS9_S9_21rocsparse_index_base_20rocsparse_diag_type_20rocsparse_direction_b,comdat
.Lfunc_end28:
	.size	_ZN9rocsparseL18bsrsv_upper_sharedILj128ELj64ELi8ELb1EdEEviNS_24const_host_device_scalarIT3_EEPKiS5_PKS2_iS7_PS2_PiS9_S9_21rocsparse_index_base_20rocsparse_diag_type_20rocsparse_direction_b, .Lfunc_end28-_ZN9rocsparseL18bsrsv_upper_sharedILj128ELj64ELi8ELb1EdEEviNS_24const_host_device_scalarIT3_EEPKiS5_PKS2_iS7_PS2_PiS9_S9_21rocsparse_index_base_20rocsparse_diag_type_20rocsparse_direction_b
                                        ; -- End function
	.set _ZN9rocsparseL18bsrsv_upper_sharedILj128ELj64ELi8ELb1EdEEviNS_24const_host_device_scalarIT3_EEPKiS5_PKS2_iS7_PS2_PiS9_S9_21rocsparse_index_base_20rocsparse_diag_type_20rocsparse_direction_b.num_vgpr, 33
	.set _ZN9rocsparseL18bsrsv_upper_sharedILj128ELj64ELi8ELb1EdEEviNS_24const_host_device_scalarIT3_EEPKiS5_PKS2_iS7_PS2_PiS9_S9_21rocsparse_index_base_20rocsparse_diag_type_20rocsparse_direction_b.num_agpr, 0
	.set _ZN9rocsparseL18bsrsv_upper_sharedILj128ELj64ELi8ELb1EdEEviNS_24const_host_device_scalarIT3_EEPKiS5_PKS2_iS7_PS2_PiS9_S9_21rocsparse_index_base_20rocsparse_diag_type_20rocsparse_direction_b.numbered_sgpr, 34
	.set _ZN9rocsparseL18bsrsv_upper_sharedILj128ELj64ELi8ELb1EdEEviNS_24const_host_device_scalarIT3_EEPKiS5_PKS2_iS7_PS2_PiS9_S9_21rocsparse_index_base_20rocsparse_diag_type_20rocsparse_direction_b.num_named_barrier, 0
	.set _ZN9rocsparseL18bsrsv_upper_sharedILj128ELj64ELi8ELb1EdEEviNS_24const_host_device_scalarIT3_EEPKiS5_PKS2_iS7_PS2_PiS9_S9_21rocsparse_index_base_20rocsparse_diag_type_20rocsparse_direction_b.private_seg_size, 0
	.set _ZN9rocsparseL18bsrsv_upper_sharedILj128ELj64ELi8ELb1EdEEviNS_24const_host_device_scalarIT3_EEPKiS5_PKS2_iS7_PS2_PiS9_S9_21rocsparse_index_base_20rocsparse_diag_type_20rocsparse_direction_b.uses_vcc, 1
	.set _ZN9rocsparseL18bsrsv_upper_sharedILj128ELj64ELi8ELb1EdEEviNS_24const_host_device_scalarIT3_EEPKiS5_PKS2_iS7_PS2_PiS9_S9_21rocsparse_index_base_20rocsparse_diag_type_20rocsparse_direction_b.uses_flat_scratch, 0
	.set _ZN9rocsparseL18bsrsv_upper_sharedILj128ELj64ELi8ELb1EdEEviNS_24const_host_device_scalarIT3_EEPKiS5_PKS2_iS7_PS2_PiS9_S9_21rocsparse_index_base_20rocsparse_diag_type_20rocsparse_direction_b.has_dyn_sized_stack, 0
	.set _ZN9rocsparseL18bsrsv_upper_sharedILj128ELj64ELi8ELb1EdEEviNS_24const_host_device_scalarIT3_EEPKiS5_PKS2_iS7_PS2_PiS9_S9_21rocsparse_index_base_20rocsparse_diag_type_20rocsparse_direction_b.has_recursion, 0
	.set _ZN9rocsparseL18bsrsv_upper_sharedILj128ELj64ELi8ELb1EdEEviNS_24const_host_device_scalarIT3_EEPKiS5_PKS2_iS7_PS2_PiS9_S9_21rocsparse_index_base_20rocsparse_diag_type_20rocsparse_direction_b.has_indirect_call, 0
	.section	.AMDGPU.csdata,"",@progbits
; Kernel info:
; codeLenInByte = 1720
; TotalNumSgprs: 38
; NumVgprs: 33
; ScratchSize: 0
; MemoryBound: 0
; FloatMode: 240
; IeeeMode: 1
; LDSByteSize: 1152 bytes/workgroup (compile time only)
; SGPRBlocks: 4
; VGPRBlocks: 8
; NumSGPRsForWavesPerEU: 38
; NumVGPRsForWavesPerEU: 33
; Occupancy: 7
; WaveLimiterHint : 1
; COMPUTE_PGM_RSRC2:SCRATCH_EN: 0
; COMPUTE_PGM_RSRC2:USER_SGPR: 6
; COMPUTE_PGM_RSRC2:TRAP_HANDLER: 0
; COMPUTE_PGM_RSRC2:TGID_X_EN: 1
; COMPUTE_PGM_RSRC2:TGID_Y_EN: 0
; COMPUTE_PGM_RSRC2:TGID_Z_EN: 0
; COMPUTE_PGM_RSRC2:TIDIG_COMP_CNT: 0
	.section	.text._ZN9rocsparseL18bsrsv_upper_sharedILj128ELj64ELi8ELb0EdEEviNS_24const_host_device_scalarIT3_EEPKiS5_PKS2_iS7_PS2_PiS9_S9_21rocsparse_index_base_20rocsparse_diag_type_20rocsparse_direction_b,"axG",@progbits,_ZN9rocsparseL18bsrsv_upper_sharedILj128ELj64ELi8ELb0EdEEviNS_24const_host_device_scalarIT3_EEPKiS5_PKS2_iS7_PS2_PiS9_S9_21rocsparse_index_base_20rocsparse_diag_type_20rocsparse_direction_b,comdat
	.globl	_ZN9rocsparseL18bsrsv_upper_sharedILj128ELj64ELi8ELb0EdEEviNS_24const_host_device_scalarIT3_EEPKiS5_PKS2_iS7_PS2_PiS9_S9_21rocsparse_index_base_20rocsparse_diag_type_20rocsparse_direction_b ; -- Begin function _ZN9rocsparseL18bsrsv_upper_sharedILj128ELj64ELi8ELb0EdEEviNS_24const_host_device_scalarIT3_EEPKiS5_PKS2_iS7_PS2_PiS9_S9_21rocsparse_index_base_20rocsparse_diag_type_20rocsparse_direction_b
	.p2align	8
	.type	_ZN9rocsparseL18bsrsv_upper_sharedILj128ELj64ELi8ELb0EdEEviNS_24const_host_device_scalarIT3_EEPKiS5_PKS2_iS7_PS2_PiS9_S9_21rocsparse_index_base_20rocsparse_diag_type_20rocsparse_direction_b,@function
_ZN9rocsparseL18bsrsv_upper_sharedILj128ELj64ELi8ELb0EdEEviNS_24const_host_device_scalarIT3_EEPKiS5_PKS2_iS7_PS2_PiS9_S9_21rocsparse_index_base_20rocsparse_diag_type_20rocsparse_direction_b: ; @_ZN9rocsparseL18bsrsv_upper_sharedILj128ELj64ELi8ELb0EdEEviNS_24const_host_device_scalarIT3_EEPKiS5_PKS2_iS7_PS2_PiS9_S9_21rocsparse_index_base_20rocsparse_diag_type_20rocsparse_direction_b
; %bb.0:
	s_load_dwordx4 s[8:11], s[4:5], 0x58
	s_load_dwordx2 s[0:1], s[4:5], 0x8
	s_waitcnt lgkmcnt(0)
	s_bitcmp1_b32 s11, 0
	s_cselect_b64 s[2:3], -1, 0
	v_mov_b32_e32 v6, s1
	s_and_b64 vcc, exec, s[2:3]
	v_mov_b32_e32 v5, s0
	s_cbranch_vccnz .LBB29_2
; %bb.1:
	v_mov_b32_e32 v2, s1
	v_mov_b32_e32 v1, s0
	flat_load_dwordx2 v[5:6], v[1:2]
.LBB29_2:
	s_load_dword s7, s[4:5], 0x0
	s_lshl_b32 s0, s6, 1
	v_lshrrev_b32_e32 v13, 6, v0
	s_and_b32 s0, s0, 0x3fffffe
	v_or_b32_e32 v1, s0, v13
	s_waitcnt lgkmcnt(0)
	v_cmp_gt_i32_e32 vcc, s7, v1
	s_and_saveexec_b64 s[0:1], vcc
	s_cbranch_execz .LBB29_29
; %bb.3:
	s_load_dwordx2 s[0:1], s[4:5], 0x48
	s_load_dwordx4 s[12:15], s[4:5], 0x38
	v_lshlrev_b32_e32 v1, 2, v1
	v_mov_b32_e32 v9, 0
	v_mov_b32_e32 v10, 0
	s_waitcnt lgkmcnt(0)
	global_load_dword v1, v1, s[0:1]
	s_load_dwordx2 s[0:1], s[4:5], 0x10
	s_load_dword s33, s[4:5], 0x28
	s_waitcnt lgkmcnt(0)
	v_mov_b32_e32 v4, s1
	s_waitcnt vmcnt(0)
	v_ashrrev_i32_e32 v2, 31, v1
	v_lshlrev_b64 v[2:3], 2, v[1:2]
	v_add_co_u32_e32 v7, vcc, s0, v2
	v_addc_co_u32_e32 v8, vcc, v4, v3, vcc
	global_load_dwordx2 v[7:8], v[7:8], off
	v_and_b32_e32 v4, 63, v0
	v_cmp_gt_i32_e64 s[0:1], s33, v4
	s_and_saveexec_b64 s[2:3], s[0:1]
	s_cbranch_execz .LBB29_5
; %bb.4:
	v_mad_u64_u32 v[9:10], s[16:17], v1, s33, v[4:5]
	s_load_dwordx2 s[16:17], s[4:5], 0x30
	v_ashrrev_i32_e32 v10, 31, v9
	v_lshlrev_b64 v[9:10], 3, v[9:10]
	s_waitcnt lgkmcnt(0)
	v_mov_b32_e32 v11, s17
	v_add_co_u32_e32 v9, vcc, s16, v9
	v_addc_co_u32_e32 v10, vcc, v11, v10, vcc
	global_load_dwordx2 v[9:10], v[9:10], off
.LBB29_5:
	s_or_b64 exec, exec, s[2:3]
	s_waitcnt vmcnt(0)
	v_mul_f64 v[5:6], v[5:6], v[9:10]
	s_load_dwordx2 s[20:21], s[4:5], 0x50
	v_subrev_u32_e32 v15, s8, v7
	v_xad_u32 v7, s8, -1, v8
	v_cmp_ge_i32_e32 vcc, v7, v15
	v_mov_b32_e32 v10, s7
	v_lshlrev_b32_e32 v14, 3, v4
	s_and_saveexec_b64 s[22:23], vcc
	s_cbranch_execz .LBB29_26
; %bb.6:
	s_load_dwordx4 s[16:19], s[4:5], 0x18
	v_and_b32_e32 v8, 64, v0
	v_lshlrev_b32_e32 v10, 3, v8
	v_and_b32_e32 v0, 7, v0
	v_lshrrev_b32_e32 v9, 3, v4
	v_or_b32_e32 v16, 0x400, v8
	v_lshl_or_b32 v8, v0, 3, v10
	v_or_b32_e32 v18, v10, v14
	v_max_i32_e32 v10, v0, v9
	s_cmp_lg_u32 s10, 0
	v_cmp_gt_i32_e64 s[4:5], s33, v10
	v_lshlrev_b32_e32 v10, 6, v9
	s_cselect_b64 s[10:11], -1, 0
	v_cmp_gt_u32_e64 s[2:3], 8, v4
	v_add_u32_e32 v17, v16, v14
	s_mov_b64 s[24:25], 0
	s_waitcnt lgkmcnt(0)
	v_mov_b32_e32 v19, s17
	v_add_u32_e32 v20, v8, v10
	s_branch .LBB29_9
.LBB29_7:                               ;   in Loop: Header=BB29_9 Depth=1
	s_or_b64 exec, exec, s[6:7]
.LBB29_8:                               ;   in Loop: Header=BB29_9 Depth=1
	s_or_b64 exec, exec, s[26:27]
	v_cmp_le_i32_e64 s[6:7], v7, v15
	s_xor_b64 s[26:27], vcc, -1
	s_or_b64 s[6:7], s[26:27], s[6:7]
	v_add_u32_e32 v8, -1, v7
	s_and_b64 s[6:7], exec, s[6:7]
	s_or_b64 s[24:25], s[6:7], s[24:25]
	v_mov_b32_e32 v7, v8
	s_andn2_b64 exec, exec, s[24:25]
	s_cbranch_execz .LBB29_25
.LBB29_9:                               ; =>This Loop Header: Depth=1
                                        ;     Child Loop BB29_17 Depth 2
	v_ashrrev_i32_e32 v8, 31, v7
	v_lshlrev_b64 v[10:11], 2, v[7:8]
	v_add_co_u32_e32 v10, vcc, s16, v10
	v_addc_co_u32_e32 v11, vcc, v19, v11, vcc
	global_load_dword v8, v[10:11], off
	v_mov_b32_e32 v11, 0
	v_mov_b32_e32 v12, 0
	s_and_saveexec_b64 s[6:7], s[4:5]
	s_cbranch_execz .LBB29_14
; %bb.10:                               ;   in Loop: Header=BB29_9 Depth=1
	v_mul_lo_u32 v12, v7, s33
	s_and_b64 vcc, exec, s[10:11]
	s_cbranch_vccz .LBB29_24
; %bb.11:                               ;   in Loop: Header=BB29_9 Depth=1
	v_add_u32_e32 v10, v12, v9
	v_mad_u64_u32 v[10:11], s[26:27], v10, s33, v[0:1]
	s_cbranch_execnz .LBB29_13
.LBB29_12:                              ;   in Loop: Header=BB29_9 Depth=1
	v_add_u32_e32 v10, v12, v0
	v_mad_u64_u32 v[10:11], s[26:27], v10, s33, v[9:10]
.LBB29_13:                              ;   in Loop: Header=BB29_9 Depth=1
	v_ashrrev_i32_e32 v11, 31, v10
	v_lshlrev_b64 v[10:11], 3, v[10:11]
	v_mov_b32_e32 v12, s19
	v_add_co_u32_e32 v10, vcc, s18, v10
	v_addc_co_u32_e32 v11, vcc, v12, v11, vcc
	global_load_dwordx2 v[11:12], v[10:11], off
.LBB29_14:                              ;   in Loop: Header=BB29_9 Depth=1
	s_or_b64 exec, exec, s[6:7]
	s_waitcnt vmcnt(0)
	v_subrev_u32_e32 v10, s8, v8
	v_cmp_gt_i32_e32 vcc, v10, v1
	ds_write_b64 v20, v[11:12]
	s_and_saveexec_b64 s[26:27], vcc
	s_cbranch_execz .LBB29_8
; %bb.15:                               ;   in Loop: Header=BB29_9 Depth=1
	v_ashrrev_i32_e32 v11, 31, v10
	v_lshlrev_b64 v[11:12], 2, v[10:11]
	v_mov_b32_e32 v8, s15
	v_add_co_u32_e64 v11, s[6:7], s14, v11
	v_addc_co_u32_e64 v12, s[6:7], v8, v12, s[6:7]
	global_load_dword v8, v[11:12], off glc
	s_waitcnt vmcnt(0)
	v_cmp_eq_u32_e64 s[6:7], 0, v8
	s_and_saveexec_b64 s[28:29], s[6:7]
	s_cbranch_execz .LBB29_18
; %bb.16:                               ;   in Loop: Header=BB29_9 Depth=1
	s_mov_b64 s[30:31], 0
.LBB29_17:                              ;   Parent Loop BB29_9 Depth=1
                                        ; =>  This Inner Loop Header: Depth=2
	global_load_dword v8, v[11:12], off glc
	s_waitcnt vmcnt(0)
	v_cmp_ne_u32_e64 s[6:7], 0, v8
	s_or_b64 s[30:31], s[6:7], s[30:31]
	s_andn2_b64 exec, exec, s[30:31]
	s_cbranch_execnz .LBB29_17
.LBB29_18:                              ;   in Loop: Header=BB29_9 Depth=1
	s_or_b64 exec, exec, s[28:29]
	s_waitcnt lgkmcnt(0)
	buffer_wbinvl1_vol
	s_and_saveexec_b64 s[28:29], s[2:3]
	s_cbranch_execz .LBB29_22
; %bb.19:                               ;   in Loop: Header=BB29_9 Depth=1
	v_mov_b32_e32 v11, 0
	v_mov_b32_e32 v12, 0
	s_and_saveexec_b64 s[30:31], s[0:1]
	s_cbranch_execz .LBB29_21
; %bb.20:                               ;   in Loop: Header=BB29_9 Depth=1
	v_mad_u64_u32 v[11:12], s[6:7], v10, s33, v[4:5]
	v_mov_b32_e32 v8, s13
	v_ashrrev_i32_e32 v12, 31, v11
	v_lshlrev_b64 v[11:12], 3, v[11:12]
	v_add_co_u32_e64 v11, s[6:7], s12, v11
	v_addc_co_u32_e64 v12, s[6:7], v8, v12, s[6:7]
	global_load_dwordx2 v[11:12], v[11:12], off
.LBB29_21:                              ;   in Loop: Header=BB29_9 Depth=1
	s_or_b64 exec, exec, s[30:31]
	s_waitcnt vmcnt(0)
	ds_write_b64 v17, v[11:12]
.LBB29_22:                              ;   in Loop: Header=BB29_9 Depth=1
	s_or_b64 exec, exec, s[28:29]
	s_waitcnt lgkmcnt(0)
	s_and_saveexec_b64 s[6:7], s[0:1]
	s_cbranch_execz .LBB29_7
; %bb.23:                               ;   in Loop: Header=BB29_9 Depth=1
	ds_read2_b64 v[21:24], v18 offset1:8
	ds_read_b128 v[25:28], v16
	ds_read_b128 v[29:32], v16 offset:16
	s_waitcnt lgkmcnt(1)
	v_fma_f64 v[5:6], -v[21:22], v[25:26], v[5:6]
	v_fma_f64 v[5:6], -v[23:24], v[27:28], v[5:6]
	ds_read2_b64 v[21:24], v18 offset0:16 offset1:24
	s_waitcnt lgkmcnt(0)
	v_fma_f64 v[5:6], -v[21:22], v[29:30], v[5:6]
	v_fma_f64 v[5:6], -v[23:24], v[31:32], v[5:6]
	ds_read2_b64 v[21:24], v18 offset0:32 offset1:40
	ds_read_b128 v[25:28], v16 offset:32
	ds_read_b128 v[29:32], v16 offset:48
	s_waitcnt lgkmcnt(1)
	v_fma_f64 v[5:6], -v[21:22], v[25:26], v[5:6]
	v_fma_f64 v[5:6], -v[23:24], v[27:28], v[5:6]
	ds_read2_b64 v[21:24], v18 offset0:48 offset1:56
	s_waitcnt lgkmcnt(0)
	v_fma_f64 v[5:6], -v[21:22], v[29:30], v[5:6]
	v_fma_f64 v[5:6], -v[23:24], v[31:32], v[5:6]
	s_branch .LBB29_7
.LBB29_24:                              ;   in Loop: Header=BB29_9 Depth=1
                                        ; implicit-def: $vgpr10
	s_branch .LBB29_12
.LBB29_25:
	s_or_b64 exec, exec, s[24:25]
.LBB29_26:
	s_or_b64 exec, exec, s[22:23]
	s_cmp_gt_i32 s33, 0
	v_cmp_eq_u32_e32 vcc, v10, v1
	s_cselect_b64 s[2:3], -1, 0
	s_and_b64 s[4:5], s[2:3], vcc
	s_mov_b64 s[2:3], 0
	s_and_saveexec_b64 s[6:7], s[4:5]
	s_cbranch_execnz .LBB29_30
; %bb.27:
	s_or_b64 exec, exec, s[6:7]
	s_and_saveexec_b64 s[4:5], s[0:1]
	s_cbranch_execnz .LBB29_41
.LBB29_28:
	s_or_b64 exec, exec, s[4:5]
	v_cmp_eq_u32_e32 vcc, 0, v4
	s_and_b64 exec, exec, vcc
	s_cbranch_execnz .LBB29_42
.LBB29_29:
	s_endpgm
.LBB29_30:
	v_lshlrev_b32_e32 v7, 9, v13
	v_lshl_add_u32 v8, s33, 6, v7
	s_movk_i32 s4, 0xffc0
	s_cmp_eq_u32 s9, 0
	v_add3_u32 v11, v8, v14, s4
	s_mul_i32 s4, s33, 0x48
	s_cselect_b64 s[2:3], -1, 0
	v_mbcnt_lo_u32_b32 v0, -1, 0
	v_add_u32_e32 v7, s4, v7
	v_mbcnt_hi_u32_b32 v0, -1, v0
	v_add_u32_e32 v12, 0xffffffb8, v7
	v_cndmask_b32_e64 v7, 0, 1, s[2:3]
	v_and_b32_e32 v0, 64, v0
	s_add_i32 s9, s33, -1
	s_mov_b64 s[10:11], 0
	v_cmp_ne_u32_e64 s[2:3], 1, v7
	v_mov_b32_e32 v7, 0
	v_mov_b32_e32 v8, 0x3ff00000
	s_and_b64 vcc, exec, s[2:3]
	s_cbranch_vccnz .LBB29_32
.LBB29_31:
	ds_read_b64 v[7:8], v12
.LBB29_32:                              ; =>This Inner Loop Header: Depth=1
	s_waitcnt lgkmcnt(0)
	v_cmp_eq_f64_e64 s[4:5], 0, v[7:8]
	v_and_or_b32 v9, s9, 63, v0
	v_lshlrev_b32_e32 v10, 2, v9
	ds_bpermute_b32 v9, v10, v5
	ds_bpermute_b32 v10, v10, v6
	s_and_saveexec_b64 s[16:17], s[0:1]
	s_cbranch_execz .LBB29_38
; %bb.33:                               ;   in Loop: Header=BB29_32 Depth=1
	s_waitcnt lgkmcnt(0)
	v_div_scale_f64 v[13:14], s[18:19], v[7:8], v[7:8], v[9:10]
	v_rcp_f64_e32 v[15:16], v[13:14]
	v_fma_f64 v[17:18], -v[13:14], v[15:16], 1.0
	v_fma_f64 v[15:16], v[15:16], v[17:18], v[15:16]
	v_div_scale_f64 v[17:18], vcc, v[9:10], v[7:8], v[9:10]
	v_fma_f64 v[19:20], -v[13:14], v[15:16], 1.0
	v_fma_f64 v[15:16], v[15:16], v[19:20], v[15:16]
	v_mul_f64 v[19:20], v[17:18], v[15:16]
	v_fma_f64 v[13:14], -v[13:14], v[19:20], v[17:18]
	v_div_fmas_f64 v[13:14], v[13:14], v[15:16], v[19:20]
	v_cmp_le_i32_e32 vcc, s9, v4
	v_div_fixup_f64 v[7:8], v[13:14], v[7:8], v[9:10]
	v_cndmask_b32_e64 v8, v8, v10, s[4:5]
	v_cndmask_b32_e64 v7, v7, v9, s[4:5]
	s_and_saveexec_b64 s[18:19], vcc
	s_xor_b64 s[18:19], exec, s[18:19]
; %bb.34:                               ;   in Loop: Header=BB29_32 Depth=1
	v_cmp_eq_u32_e32 vcc, s9, v4
	v_cndmask_b32_e32 v6, v6, v8, vcc
	v_cndmask_b32_e32 v5, v5, v7, vcc
                                        ; implicit-def: $vgpr7_vgpr8
; %bb.35:                               ;   in Loop: Header=BB29_32 Depth=1
	s_andn2_saveexec_b64 s[18:19], s[18:19]
	s_cbranch_execz .LBB29_37
; %bb.36:                               ;   in Loop: Header=BB29_32 Depth=1
	ds_read_b64 v[9:10], v11
	s_waitcnt lgkmcnt(0)
	v_fma_f64 v[5:6], -v[7:8], v[9:10], v[5:6]
.LBB29_37:                              ;   in Loop: Header=BB29_32 Depth=1
	s_or_b64 exec, exec, s[18:19]
.LBB29_38:                              ;   in Loop: Header=BB29_32 Depth=1
	s_or_b64 exec, exec, s[16:17]
	s_or_b64 s[10:11], s[4:5], s[10:11]
	s_add_i32 s4, s9, -1
	s_add_i32 s5, s9, 1
	v_subrev_u32_e32 v11, 64, v11
	s_cmp_gt_u32 s5, 1
	v_add_u32_e32 v12, 0xffffffb8, v12
	s_cbranch_scc0 .LBB29_40
; %bb.39:                               ;   in Loop: Header=BB29_32 Depth=1
	s_mov_b32 s9, s4
	v_mov_b32_e32 v7, 0
	v_mov_b32_e32 v8, 0x3ff00000
	s_and_b64 vcc, exec, s[2:3]
	s_cbranch_vccnz .LBB29_32
	s_branch .LBB29_31
.LBB29_40:
	s_and_b64 s[2:3], s[10:11], exec
	s_or_b64 exec, exec, s[6:7]
	s_and_saveexec_b64 s[4:5], s[0:1]
	s_cbranch_execz .LBB29_28
.LBB29_41:
	v_mad_u64_u32 v[7:8], s[0:1], v1, s33, v[4:5]
	v_mov_b32_e32 v0, s13
	v_ashrrev_i32_e32 v8, 31, v7
	v_lshlrev_b64 v[7:8], 3, v[7:8]
	v_add_co_u32_e32 v7, vcc, s12, v7
	v_addc_co_u32_e32 v8, vcc, v0, v8, vcc
	global_store_dwordx2 v[7:8], v[5:6], off
	s_or_b64 exec, exec, s[4:5]
	v_cmp_eq_u32_e32 vcc, 0, v4
	s_and_b64 exec, exec, vcc
	s_cbranch_execz .LBB29_29
.LBB29_42:
	v_mov_b32_e32 v0, s15
	v_add_co_u32_e32 v2, vcc, s14, v2
	v_addc_co_u32_e32 v3, vcc, v0, v3, vcc
	v_mov_b32_e32 v0, 1
	s_waitcnt vmcnt(0) lgkmcnt(0)
	global_store_dword v[2:3], v0, off
	s_and_b64 exec, exec, s[2:3]
	s_cbranch_execz .LBB29_29
; %bb.43:
	s_mov_b64 s[0:1], exec
	v_add_u32_e32 v0, s8, v1
	s_brev_b32 s2, -2
.LBB29_44:                              ; =>This Inner Loop Header: Depth=1
	s_ff1_i32_b64 s3, s[0:1]
	v_readlane_b32 s6, v0, s3
	s_lshl_b64 s[4:5], 1, s3
	s_min_i32 s2, s2, s6
	s_andn2_b64 s[0:1], s[0:1], s[4:5]
	s_cmp_lg_u64 s[0:1], 0
	s_cbranch_scc1 .LBB29_44
; %bb.45:
	v_mbcnt_lo_u32_b32 v0, exec_lo, 0
	v_mbcnt_hi_u32_b32 v0, exec_hi, v0
	v_cmp_eq_u32_e32 vcc, 0, v0
	s_and_saveexec_b64 s[0:1], vcc
	s_xor_b64 s[0:1], exec, s[0:1]
	s_cbranch_execz .LBB29_29
; %bb.46:
	v_mov_b32_e32 v0, 0
	v_mov_b32_e32 v1, s2
	global_atomic_smin v0, v1, s[20:21]
	s_endpgm
	.section	.rodata,"a",@progbits
	.p2align	6, 0x0
	.amdhsa_kernel _ZN9rocsparseL18bsrsv_upper_sharedILj128ELj64ELi8ELb0EdEEviNS_24const_host_device_scalarIT3_EEPKiS5_PKS2_iS7_PS2_PiS9_S9_21rocsparse_index_base_20rocsparse_diag_type_20rocsparse_direction_b
		.amdhsa_group_segment_fixed_size 1152
		.amdhsa_private_segment_fixed_size 0
		.amdhsa_kernarg_size 104
		.amdhsa_user_sgpr_count 6
		.amdhsa_user_sgpr_private_segment_buffer 1
		.amdhsa_user_sgpr_dispatch_ptr 0
		.amdhsa_user_sgpr_queue_ptr 0
		.amdhsa_user_sgpr_kernarg_segment_ptr 1
		.amdhsa_user_sgpr_dispatch_id 0
		.amdhsa_user_sgpr_flat_scratch_init 0
		.amdhsa_user_sgpr_private_segment_size 0
		.amdhsa_uses_dynamic_stack 0
		.amdhsa_system_sgpr_private_segment_wavefront_offset 0
		.amdhsa_system_sgpr_workgroup_id_x 1
		.amdhsa_system_sgpr_workgroup_id_y 0
		.amdhsa_system_sgpr_workgroup_id_z 0
		.amdhsa_system_sgpr_workgroup_info 0
		.amdhsa_system_vgpr_workitem_id 0
		.amdhsa_next_free_vgpr 33
		.amdhsa_next_free_sgpr 34
		.amdhsa_reserve_vcc 1
		.amdhsa_reserve_flat_scratch 0
		.amdhsa_float_round_mode_32 0
		.amdhsa_float_round_mode_16_64 0
		.amdhsa_float_denorm_mode_32 3
		.amdhsa_float_denorm_mode_16_64 3
		.amdhsa_dx10_clamp 1
		.amdhsa_ieee_mode 1
		.amdhsa_fp16_overflow 0
		.amdhsa_exception_fp_ieee_invalid_op 0
		.amdhsa_exception_fp_denorm_src 0
		.amdhsa_exception_fp_ieee_div_zero 0
		.amdhsa_exception_fp_ieee_overflow 0
		.amdhsa_exception_fp_ieee_underflow 0
		.amdhsa_exception_fp_ieee_inexact 0
		.amdhsa_exception_int_div_zero 0
	.end_amdhsa_kernel
	.section	.text._ZN9rocsparseL18bsrsv_upper_sharedILj128ELj64ELi8ELb0EdEEviNS_24const_host_device_scalarIT3_EEPKiS5_PKS2_iS7_PS2_PiS9_S9_21rocsparse_index_base_20rocsparse_diag_type_20rocsparse_direction_b,"axG",@progbits,_ZN9rocsparseL18bsrsv_upper_sharedILj128ELj64ELi8ELb0EdEEviNS_24const_host_device_scalarIT3_EEPKiS5_PKS2_iS7_PS2_PiS9_S9_21rocsparse_index_base_20rocsparse_diag_type_20rocsparse_direction_b,comdat
.Lfunc_end29:
	.size	_ZN9rocsparseL18bsrsv_upper_sharedILj128ELj64ELi8ELb0EdEEviNS_24const_host_device_scalarIT3_EEPKiS5_PKS2_iS7_PS2_PiS9_S9_21rocsparse_index_base_20rocsparse_diag_type_20rocsparse_direction_b, .Lfunc_end29-_ZN9rocsparseL18bsrsv_upper_sharedILj128ELj64ELi8ELb0EdEEviNS_24const_host_device_scalarIT3_EEPKiS5_PKS2_iS7_PS2_PiS9_S9_21rocsparse_index_base_20rocsparse_diag_type_20rocsparse_direction_b
                                        ; -- End function
	.set _ZN9rocsparseL18bsrsv_upper_sharedILj128ELj64ELi8ELb0EdEEviNS_24const_host_device_scalarIT3_EEPKiS5_PKS2_iS7_PS2_PiS9_S9_21rocsparse_index_base_20rocsparse_diag_type_20rocsparse_direction_b.num_vgpr, 33
	.set _ZN9rocsparseL18bsrsv_upper_sharedILj128ELj64ELi8ELb0EdEEviNS_24const_host_device_scalarIT3_EEPKiS5_PKS2_iS7_PS2_PiS9_S9_21rocsparse_index_base_20rocsparse_diag_type_20rocsparse_direction_b.num_agpr, 0
	.set _ZN9rocsparseL18bsrsv_upper_sharedILj128ELj64ELi8ELb0EdEEviNS_24const_host_device_scalarIT3_EEPKiS5_PKS2_iS7_PS2_PiS9_S9_21rocsparse_index_base_20rocsparse_diag_type_20rocsparse_direction_b.numbered_sgpr, 34
	.set _ZN9rocsparseL18bsrsv_upper_sharedILj128ELj64ELi8ELb0EdEEviNS_24const_host_device_scalarIT3_EEPKiS5_PKS2_iS7_PS2_PiS9_S9_21rocsparse_index_base_20rocsparse_diag_type_20rocsparse_direction_b.num_named_barrier, 0
	.set _ZN9rocsparseL18bsrsv_upper_sharedILj128ELj64ELi8ELb0EdEEviNS_24const_host_device_scalarIT3_EEPKiS5_PKS2_iS7_PS2_PiS9_S9_21rocsparse_index_base_20rocsparse_diag_type_20rocsparse_direction_b.private_seg_size, 0
	.set _ZN9rocsparseL18bsrsv_upper_sharedILj128ELj64ELi8ELb0EdEEviNS_24const_host_device_scalarIT3_EEPKiS5_PKS2_iS7_PS2_PiS9_S9_21rocsparse_index_base_20rocsparse_diag_type_20rocsparse_direction_b.uses_vcc, 1
	.set _ZN9rocsparseL18bsrsv_upper_sharedILj128ELj64ELi8ELb0EdEEviNS_24const_host_device_scalarIT3_EEPKiS5_PKS2_iS7_PS2_PiS9_S9_21rocsparse_index_base_20rocsparse_diag_type_20rocsparse_direction_b.uses_flat_scratch, 0
	.set _ZN9rocsparseL18bsrsv_upper_sharedILj128ELj64ELi8ELb0EdEEviNS_24const_host_device_scalarIT3_EEPKiS5_PKS2_iS7_PS2_PiS9_S9_21rocsparse_index_base_20rocsparse_diag_type_20rocsparse_direction_b.has_dyn_sized_stack, 0
	.set _ZN9rocsparseL18bsrsv_upper_sharedILj128ELj64ELi8ELb0EdEEviNS_24const_host_device_scalarIT3_EEPKiS5_PKS2_iS7_PS2_PiS9_S9_21rocsparse_index_base_20rocsparse_diag_type_20rocsparse_direction_b.has_recursion, 0
	.set _ZN9rocsparseL18bsrsv_upper_sharedILj128ELj64ELi8ELb0EdEEviNS_24const_host_device_scalarIT3_EEPKiS5_PKS2_iS7_PS2_PiS9_S9_21rocsparse_index_base_20rocsparse_diag_type_20rocsparse_direction_b.has_indirect_call, 0
	.section	.AMDGPU.csdata,"",@progbits
; Kernel info:
; codeLenInByte = 1664
; TotalNumSgprs: 38
; NumVgprs: 33
; ScratchSize: 0
; MemoryBound: 0
; FloatMode: 240
; IeeeMode: 1
; LDSByteSize: 1152 bytes/workgroup (compile time only)
; SGPRBlocks: 4
; VGPRBlocks: 8
; NumSGPRsForWavesPerEU: 38
; NumVGPRsForWavesPerEU: 33
; Occupancy: 7
; WaveLimiterHint : 1
; COMPUTE_PGM_RSRC2:SCRATCH_EN: 0
; COMPUTE_PGM_RSRC2:USER_SGPR: 6
; COMPUTE_PGM_RSRC2:TRAP_HANDLER: 0
; COMPUTE_PGM_RSRC2:TGID_X_EN: 1
; COMPUTE_PGM_RSRC2:TGID_Y_EN: 0
; COMPUTE_PGM_RSRC2:TGID_Z_EN: 0
; COMPUTE_PGM_RSRC2:TIDIG_COMP_CNT: 0
	.section	.text._ZN9rocsparseL18bsrsv_lower_sharedILj128ELj64ELi16ELb1EdEEviNS_24const_host_device_scalarIT3_EEPKiS5_PKS2_iS7_PS2_PiS9_S9_21rocsparse_index_base_20rocsparse_diag_type_20rocsparse_direction_b,"axG",@progbits,_ZN9rocsparseL18bsrsv_lower_sharedILj128ELj64ELi16ELb1EdEEviNS_24const_host_device_scalarIT3_EEPKiS5_PKS2_iS7_PS2_PiS9_S9_21rocsparse_index_base_20rocsparse_diag_type_20rocsparse_direction_b,comdat
	.globl	_ZN9rocsparseL18bsrsv_lower_sharedILj128ELj64ELi16ELb1EdEEviNS_24const_host_device_scalarIT3_EEPKiS5_PKS2_iS7_PS2_PiS9_S9_21rocsparse_index_base_20rocsparse_diag_type_20rocsparse_direction_b ; -- Begin function _ZN9rocsparseL18bsrsv_lower_sharedILj128ELj64ELi16ELb1EdEEviNS_24const_host_device_scalarIT3_EEPKiS5_PKS2_iS7_PS2_PiS9_S9_21rocsparse_index_base_20rocsparse_diag_type_20rocsparse_direction_b
	.p2align	8
	.type	_ZN9rocsparseL18bsrsv_lower_sharedILj128ELj64ELi16ELb1EdEEviNS_24const_host_device_scalarIT3_EEPKiS5_PKS2_iS7_PS2_PiS9_S9_21rocsparse_index_base_20rocsparse_diag_type_20rocsparse_direction_b,@function
_ZN9rocsparseL18bsrsv_lower_sharedILj128ELj64ELi16ELb1EdEEviNS_24const_host_device_scalarIT3_EEPKiS5_PKS2_iS7_PS2_PiS9_S9_21rocsparse_index_base_20rocsparse_diag_type_20rocsparse_direction_b: ; @_ZN9rocsparseL18bsrsv_lower_sharedILj128ELj64ELi16ELb1EdEEviNS_24const_host_device_scalarIT3_EEPKiS5_PKS2_iS7_PS2_PiS9_S9_21rocsparse_index_base_20rocsparse_diag_type_20rocsparse_direction_b
; %bb.0:
	s_load_dwordx4 s[8:11], s[4:5], 0x58
	s_load_dwordx2 s[0:1], s[4:5], 0x8
	s_waitcnt lgkmcnt(0)
	s_bitcmp1_b32 s11, 0
	s_cselect_b64 s[2:3], -1, 0
	v_mov_b32_e32 v6, s1
	s_and_b64 vcc, exec, s[2:3]
	v_mov_b32_e32 v5, s0
	s_cbranch_vccnz .LBB30_2
; %bb.1:
	v_mov_b32_e32 v2, s1
	v_mov_b32_e32 v1, s0
	flat_load_dwordx2 v[5:6], v[1:2]
.LBB30_2:
	s_load_dword s7, s[4:5], 0x0
	s_lshl_b32 s0, s6, 1
	v_lshrrev_b32_e32 v12, 6, v0
	s_and_b32 s0, s0, 0x3fffffe
	v_or_b32_e32 v1, s0, v12
	s_waitcnt lgkmcnt(0)
	v_cmp_gt_i32_e32 vcc, s7, v1
	s_and_saveexec_b64 s[0:1], vcc
	s_cbranch_execz .LBB30_33
; %bb.3:
	s_load_dwordx2 s[0:1], s[4:5], 0x48
	s_load_dwordx4 s[12:15], s[4:5], 0x38
	v_lshlrev_b32_e32 v1, 2, v1
	s_waitcnt lgkmcnt(0)
	global_load_dword v1, v1, s[0:1]
	s_load_dwordx2 s[0:1], s[4:5], 0x10
	s_load_dword s33, s[4:5], 0x28
	s_waitcnt lgkmcnt(0)
	v_mov_b32_e32 v4, s1
	s_waitcnt vmcnt(0)
	v_ashrrev_i32_e32 v2, 31, v1
	v_lshlrev_b64 v[2:3], 2, v[1:2]
	v_add_co_u32_e32 v7, vcc, s0, v2
	v_addc_co_u32_e32 v8, vcc, v4, v3, vcc
	global_load_dwordx2 v[9:10], v[7:8], off
	v_and_b32_e32 v4, 63, v0
	v_mov_b32_e32 v7, 0
	v_mov_b32_e32 v8, 0
	v_cmp_gt_i32_e64 s[0:1], s33, v4
	s_and_saveexec_b64 s[2:3], s[0:1]
	s_cbranch_execz .LBB30_5
; %bb.4:
	v_mad_u64_u32 v[7:8], s[16:17], v1, s33, v[4:5]
	s_load_dwordx2 s[16:17], s[4:5], 0x30
	v_ashrrev_i32_e32 v8, 31, v7
	v_lshlrev_b64 v[7:8], 3, v[7:8]
	s_waitcnt lgkmcnt(0)
	v_mov_b32_e32 v11, s17
	v_add_co_u32_e32 v7, vcc, s16, v7
	v_addc_co_u32_e32 v8, vcc, v11, v8, vcc
	global_load_dwordx2 v[7:8], v[7:8], off
.LBB30_5:
	s_or_b64 exec, exec, s[2:3]
	s_waitcnt vmcnt(0)
	v_mul_f64 v[5:6], v[5:6], v[7:8]
	s_load_dwordx2 s[20:21], s[4:5], 0x50
	v_lshlrev_b32_e32 v11, 11, v12
	v_cmp_lt_i32_e32 vcc, v9, v10
	v_mov_b32_e32 v8, s7
	s_and_saveexec_b64 s[22:23], vcc
	s_cbranch_execz .LBB30_30
; %bb.6:
	v_mov_b32_e32 v7, 0x1000
	v_lshl_or_b32 v12, v12, 7, v7
	v_subrev_u32_e32 v7, s8, v9
	v_and_b32_e32 v0, 15, v0
	v_mad_u64_u32 v[8:9], s[6:7], s33, v7, v[0:1]
	s_load_dwordx4 s[16:19], s[4:5], 0x18
	v_lshrrev_b32_e32 v14, 4, v4
	v_mul_lo_u32 v17, s33, v8
	v_lshlrev_b32_e32 v9, 3, v4
	s_cmp_lg_u32 s10, 0
	v_add_u32_e32 v15, v12, v9
	v_add_u32_e32 v16, v11, v9
	v_lshlrev_b32_e32 v8, 7, v14
	v_lshlrev_b32_e32 v9, 3, v0
	v_subrev_u32_e32 v13, s8, v10
	v_cmp_gt_i32_e64 s[2:3], s33, v0
	s_cselect_b64 s[10:11], -1, 0
	v_cmp_gt_u32_e64 s[4:5], 16, v4
	s_mul_i32 s34, s33, s33
	v_add3_u32 v18, v11, v8, v9
	s_mov_b64 s[24:25], 0
	s_waitcnt lgkmcnt(0)
	v_mov_b32_e32 v19, s17
	s_branch .LBB30_9
.LBB30_7:                               ;   in Loop: Header=BB30_9 Depth=1
	s_or_b64 exec, exec, s[6:7]
.LBB30_8:                               ;   in Loop: Header=BB30_9 Depth=1
	s_or_b64 exec, exec, s[26:27]
	v_add_u32_e32 v7, 1, v7
	v_cmp_ge_i32_e64 s[6:7], v7, v13
	s_xor_b64 s[26:27], vcc, -1
	s_or_b64 s[6:7], s[26:27], s[6:7]
	s_and_b64 s[6:7], exec, s[6:7]
	s_or_b64 s[24:25], s[6:7], s[24:25]
	v_add_u32_e32 v17, s34, v17
	s_andn2_b64 exec, exec, s[24:25]
	s_cbranch_execz .LBB30_29
.LBB30_9:                               ; =>This Loop Header: Depth=1
                                        ;     Child Loop BB30_12 Depth 2
                                        ;     Child Loop BB30_21 Depth 2
                                        ;       Child Loop BB30_22 Depth 3
	v_ashrrev_i32_e32 v8, 31, v7
	v_lshlrev_b64 v[8:9], 2, v[7:8]
	v_mul_lo_u32 v20, v7, s33
	v_add_co_u32_e32 v8, vcc, s16, v8
	v_addc_co_u32_e32 v9, vcc, v19, v9, vcc
	global_load_dword v10, v[8:9], off
	s_mov_b64 s[6:7], 0
	v_mov_b32_e32 v21, v18
	v_mov_b32_e32 v22, v14
	s_branch .LBB30_12
.LBB30_10:                              ;   in Loop: Header=BB30_12 Depth=2
	v_ashrrev_i32_e32 v9, 31, v8
	v_lshlrev_b64 v[8:9], 3, v[8:9]
	v_mov_b32_e32 v23, s19
	v_add_co_u32_e32 v8, vcc, s18, v8
	v_addc_co_u32_e32 v9, vcc, v23, v9, vcc
	global_load_dwordx2 v[8:9], v[8:9], off
.LBB30_11:                              ;   in Loop: Header=BB30_12 Depth=2
	s_or_b64 exec, exec, s[26:27]
	s_waitcnt vmcnt(0)
	ds_write_b64 v21, v[8:9]
	v_add_u32_e32 v8, 4, v22
	v_cmp_lt_u32_e32 vcc, 11, v22
	v_add_u32_e32 v21, 0x200, v21
	s_or_b64 s[6:7], vcc, s[6:7]
	v_mov_b32_e32 v22, v8
	s_andn2_b64 exec, exec, s[6:7]
	s_cbranch_execz .LBB30_17
.LBB30_12:                              ;   Parent Loop BB30_9 Depth=1
                                        ; =>  This Inner Loop Header: Depth=2
	v_cmp_gt_i32_e32 vcc, s33, v22
	v_mov_b32_e32 v8, 0
	v_mov_b32_e32 v9, 0
	s_and_b64 s[28:29], s[2:3], vcc
	s_and_saveexec_b64 s[26:27], s[28:29]
	s_cbranch_execz .LBB30_11
; %bb.13:                               ;   in Loop: Header=BB30_12 Depth=2
	s_and_b64 vcc, exec, s[10:11]
	s_cbranch_vccz .LBB30_15
; %bb.14:                               ;   in Loop: Header=BB30_12 Depth=2
	v_add_u32_e32 v8, v22, v20
	v_mad_u64_u32 v[8:9], s[28:29], v8, s33, v[0:1]
	s_cbranch_execnz .LBB30_10
	s_branch .LBB30_16
.LBB30_15:                              ;   in Loop: Header=BB30_12 Depth=2
                                        ; implicit-def: $vgpr8
.LBB30_16:                              ;   in Loop: Header=BB30_12 Depth=2
	v_add_u32_e32 v8, v17, v22
	s_branch .LBB30_10
.LBB30_17:                              ;   in Loop: Header=BB30_9 Depth=1
	s_or_b64 exec, exec, s[6:7]
	v_subrev_u32_e32 v8, s8, v10
	v_cmp_lt_i32_e32 vcc, v8, v1
	s_and_saveexec_b64 s[26:27], vcc
	s_cbranch_execz .LBB30_8
; %bb.18:                               ;   in Loop: Header=BB30_9 Depth=1
	v_ashrrev_i32_e32 v9, 31, v8
	v_lshlrev_b64 v[9:10], 2, v[8:9]
	v_mov_b32_e32 v20, s15
	v_add_co_u32_e64 v9, s[6:7], s14, v9
	v_addc_co_u32_e64 v10, s[6:7], v20, v10, s[6:7]
	global_load_dword v20, v[9:10], off glc
	s_waitcnt vmcnt(0)
	v_cmp_eq_u32_e64 s[6:7], 0, v20
	s_and_saveexec_b64 s[28:29], s[6:7]
	s_cbranch_execz .LBB30_23
; %bb.19:                               ;   in Loop: Header=BB30_9 Depth=1
	s_mov_b32 s17, 0
	s_mov_b64 s[30:31], 0
	s_branch .LBB30_21
.LBB30_20:                              ;   in Loop: Header=BB30_21 Depth=2
	global_load_dword v20, v[9:10], off glc
	s_cmpk_lt_u32 s17, 0xf43
	s_cselect_b64 s[6:7], -1, 0
	s_cmp_lg_u64 s[6:7], 0
	s_addc_u32 s17, s17, 0
	s_waitcnt vmcnt(0)
	v_cmp_ne_u32_e64 s[6:7], 0, v20
	s_or_b64 s[30:31], s[6:7], s[30:31]
	s_andn2_b64 exec, exec, s[30:31]
	s_cbranch_execz .LBB30_23
.LBB30_21:                              ;   Parent Loop BB30_9 Depth=1
                                        ; =>  This Loop Header: Depth=2
                                        ;       Child Loop BB30_22 Depth 3
	s_cmp_eq_u32 s17, 0
	s_mov_b32 s6, s17
	s_cbranch_scc1 .LBB30_20
.LBB30_22:                              ;   Parent Loop BB30_9 Depth=1
                                        ;     Parent Loop BB30_21 Depth=2
                                        ; =>    This Inner Loop Header: Depth=3
	s_add_i32 s6, s6, -1
	s_cmp_eq_u32 s6, 0
	s_sleep 1
	s_cbranch_scc0 .LBB30_22
	s_branch .LBB30_20
.LBB30_23:                              ;   in Loop: Header=BB30_9 Depth=1
	s_or_b64 exec, exec, s[28:29]
	s_waitcnt lgkmcnt(0)
	buffer_wbinvl1_vol
	s_and_saveexec_b64 s[28:29], s[4:5]
	s_cbranch_execz .LBB30_27
; %bb.24:                               ;   in Loop: Header=BB30_9 Depth=1
	v_mov_b32_e32 v9, 0
	v_mov_b32_e32 v10, 0
	s_and_saveexec_b64 s[30:31], s[0:1]
	s_cbranch_execz .LBB30_26
; %bb.25:                               ;   in Loop: Header=BB30_9 Depth=1
	v_mad_u64_u32 v[9:10], s[6:7], v8, s33, v[4:5]
	v_mov_b32_e32 v20, s13
	v_ashrrev_i32_e32 v10, 31, v9
	v_lshlrev_b64 v[9:10], 3, v[9:10]
	v_add_co_u32_e64 v9, s[6:7], s12, v9
	v_addc_co_u32_e64 v10, s[6:7], v20, v10, s[6:7]
	global_load_dwordx2 v[9:10], v[9:10], off
.LBB30_26:                              ;   in Loop: Header=BB30_9 Depth=1
	s_or_b64 exec, exec, s[30:31]
	s_waitcnt vmcnt(0)
	ds_write_b64 v15, v[9:10]
.LBB30_27:                              ;   in Loop: Header=BB30_9 Depth=1
	s_or_b64 exec, exec, s[28:29]
	s_waitcnt lgkmcnt(0)
	s_and_saveexec_b64 s[6:7], s[0:1]
	s_cbranch_execz .LBB30_7
; %bb.28:                               ;   in Loop: Header=BB30_9 Depth=1
	ds_read2_b64 v[20:23], v16 offset1:16
	ds_read_b128 v[24:27], v12
	ds_read_b128 v[28:31], v12 offset:16
	s_waitcnt lgkmcnt(1)
	v_fma_f64 v[5:6], -v[20:21], v[24:25], v[5:6]
	v_fma_f64 v[5:6], -v[22:23], v[26:27], v[5:6]
	ds_read2_b64 v[20:23], v16 offset0:32 offset1:48
	s_waitcnt lgkmcnt(0)
	v_fma_f64 v[5:6], -v[20:21], v[28:29], v[5:6]
	v_fma_f64 v[5:6], -v[22:23], v[30:31], v[5:6]
	ds_read2_b64 v[20:23], v16 offset0:64 offset1:80
	ds_read_b128 v[24:27], v12 offset:32
	ds_read_b128 v[28:31], v12 offset:48
	s_waitcnt lgkmcnt(1)
	v_fma_f64 v[5:6], -v[20:21], v[24:25], v[5:6]
	v_fma_f64 v[5:6], -v[22:23], v[26:27], v[5:6]
	ds_read2_b64 v[20:23], v16 offset0:96 offset1:112
	s_waitcnt lgkmcnt(0)
	v_fma_f64 v[5:6], -v[20:21], v[28:29], v[5:6]
	v_fma_f64 v[5:6], -v[22:23], v[30:31], v[5:6]
	ds_read2_b64 v[20:23], v16 offset0:128 offset1:144
	ds_read_b128 v[24:27], v12 offset:64
	;; [unrolled: 10-line block ×3, first 2 shown]
	ds_read_b128 v[28:31], v12 offset:112
	s_waitcnt lgkmcnt(1)
	v_fma_f64 v[5:6], -v[20:21], v[24:25], v[5:6]
	v_fma_f64 v[5:6], -v[22:23], v[26:27], v[5:6]
	ds_read2_b64 v[20:23], v16 offset0:224 offset1:240
	s_waitcnt lgkmcnt(0)
	v_fma_f64 v[5:6], -v[20:21], v[28:29], v[5:6]
	v_fma_f64 v[5:6], -v[22:23], v[30:31], v[5:6]
	s_branch .LBB30_7
.LBB30_29:
	s_or_b64 exec, exec, s[24:25]
.LBB30_30:
	s_or_b64 exec, exec, s[22:23]
	s_cmp_gt_i32 s33, 0
	v_cmp_eq_u32_e32 vcc, v8, v1
	s_cselect_b64 s[2:3], -1, 0
	s_mov_b32 s22, 0
	s_and_b64 s[4:5], s[2:3], vcc
	s_mov_b64 s[2:3], 0
	s_and_saveexec_b64 s[6:7], s[4:5]
	s_cbranch_execnz .LBB30_34
; %bb.31:
	s_or_b64 exec, exec, s[6:7]
	s_and_saveexec_b64 s[4:5], s[0:1]
	s_cbranch_execnz .LBB30_45
.LBB30_32:
	s_or_b64 exec, exec, s[4:5]
	v_cmp_eq_u32_e32 vcc, 0, v4
	s_and_b64 exec, exec, vcc
	s_cbranch_execnz .LBB30_46
.LBB30_33:
	s_endpgm
.LBB30_34:
	s_cmp_eq_u32 s9, 0
	v_mbcnt_lo_u32_b32 v0, -1, 0
	s_cselect_b64 s[2:3], -1, 0
	v_mbcnt_hi_u32_b32 v0, -1, v0
	v_cndmask_b32_e64 v7, 0, 1, s[2:3]
	v_and_b32_e32 v0, 64, v0
	v_lshl_add_u32 v12, v4, 3, v11
	s_mov_b64 s[10:11], 0
	v_cmp_ne_u32_e64 s[2:3], 1, v7
	s_branch .LBB30_37
.LBB30_35:                              ;   in Loop: Header=BB30_37 Depth=1
	s_or_b64 exec, exec, s[18:19]
.LBB30_36:                              ;   in Loop: Header=BB30_37 Depth=1
	s_or_b64 exec, exec, s[16:17]
	s_or_b64 s[10:11], s[4:5], s[10:11]
	s_add_i32 s22, s22, 1
	v_add_u32_e32 v12, 0x80, v12
	s_cmp_lg_u32 s33, s22
	v_add_u32_e32 v11, 0x88, v11
	s_cbranch_scc0 .LBB30_44
.LBB30_37:                              ; =>This Inner Loop Header: Depth=1
	v_mov_b32_e32 v7, 0
	v_mov_b32_e32 v8, 0x3ff00000
	s_and_b64 vcc, exec, s[2:3]
	s_cbranch_vccnz .LBB30_39
; %bb.38:                               ;   in Loop: Header=BB30_37 Depth=1
	ds_read_b64 v[7:8], v11
.LBB30_39:                              ;   in Loop: Header=BB30_37 Depth=1
	s_waitcnt lgkmcnt(0)
	v_cmp_eq_f64_e64 s[4:5], 0, v[7:8]
	v_and_or_b32 v9, s22, 63, v0
	v_lshlrev_b32_e32 v10, 2, v9
	ds_bpermute_b32 v9, v10, v5
	ds_bpermute_b32 v10, v10, v6
	s_and_saveexec_b64 s[16:17], s[0:1]
	s_cbranch_execz .LBB30_36
; %bb.40:                               ;   in Loop: Header=BB30_37 Depth=1
	s_waitcnt lgkmcnt(0)
	v_div_scale_f64 v[13:14], s[18:19], v[7:8], v[7:8], v[9:10]
	v_rcp_f64_e32 v[15:16], v[13:14]
	v_fma_f64 v[17:18], -v[13:14], v[15:16], 1.0
	v_fma_f64 v[15:16], v[15:16], v[17:18], v[15:16]
	v_div_scale_f64 v[17:18], vcc, v[9:10], v[7:8], v[9:10]
	v_fma_f64 v[19:20], -v[13:14], v[15:16], 1.0
	v_fma_f64 v[15:16], v[15:16], v[19:20], v[15:16]
	v_mul_f64 v[19:20], v[17:18], v[15:16]
	v_fma_f64 v[13:14], -v[13:14], v[19:20], v[17:18]
	v_div_fmas_f64 v[13:14], v[13:14], v[15:16], v[19:20]
	v_cmp_ge_u32_e32 vcc, s22, v4
	v_div_fixup_f64 v[7:8], v[13:14], v[7:8], v[9:10]
	v_cndmask_b32_e64 v8, v8, v10, s[4:5]
	v_cndmask_b32_e64 v7, v7, v9, s[4:5]
	s_and_saveexec_b64 s[18:19], vcc
	s_xor_b64 s[18:19], exec, s[18:19]
; %bb.41:                               ;   in Loop: Header=BB30_37 Depth=1
	v_cmp_eq_u32_e32 vcc, s22, v4
	v_cndmask_b32_e32 v6, v6, v8, vcc
	v_cndmask_b32_e32 v5, v5, v7, vcc
                                        ; implicit-def: $vgpr7_vgpr8
; %bb.42:                               ;   in Loop: Header=BB30_37 Depth=1
	s_andn2_saveexec_b64 s[18:19], s[18:19]
	s_cbranch_execz .LBB30_35
; %bb.43:                               ;   in Loop: Header=BB30_37 Depth=1
	ds_read_b64 v[9:10], v12
	s_waitcnt lgkmcnt(0)
	v_fma_f64 v[5:6], -v[7:8], v[9:10], v[5:6]
	s_branch .LBB30_35
.LBB30_44:
	s_and_b64 s[2:3], s[10:11], exec
	s_or_b64 exec, exec, s[6:7]
	s_and_saveexec_b64 s[4:5], s[0:1]
	s_cbranch_execz .LBB30_32
.LBB30_45:
	v_mad_u64_u32 v[7:8], s[0:1], v1, s33, v[4:5]
	v_mov_b32_e32 v0, s13
	v_ashrrev_i32_e32 v8, 31, v7
	v_lshlrev_b64 v[7:8], 3, v[7:8]
	v_add_co_u32_e32 v7, vcc, s12, v7
	v_addc_co_u32_e32 v8, vcc, v0, v8, vcc
	global_store_dwordx2 v[7:8], v[5:6], off
	s_or_b64 exec, exec, s[4:5]
	v_cmp_eq_u32_e32 vcc, 0, v4
	s_and_b64 exec, exec, vcc
	s_cbranch_execz .LBB30_33
.LBB30_46:
	v_mov_b32_e32 v0, s15
	v_add_co_u32_e32 v2, vcc, s14, v2
	v_addc_co_u32_e32 v3, vcc, v0, v3, vcc
	v_mov_b32_e32 v0, 1
	s_waitcnt vmcnt(0) lgkmcnt(0)
	global_store_dword v[2:3], v0, off
	s_and_b64 exec, exec, s[2:3]
	s_cbranch_execz .LBB30_33
; %bb.47:
	s_mov_b64 s[0:1], exec
	v_add_u32_e32 v0, s8, v1
	s_brev_b32 s2, -2
.LBB30_48:                              ; =>This Inner Loop Header: Depth=1
	s_ff1_i32_b64 s3, s[0:1]
	v_readlane_b32 s6, v0, s3
	s_lshl_b64 s[4:5], 1, s3
	s_min_i32 s2, s2, s6
	s_andn2_b64 s[0:1], s[0:1], s[4:5]
	s_cmp_lg_u64 s[0:1], 0
	s_cbranch_scc1 .LBB30_48
; %bb.49:
	v_mbcnt_lo_u32_b32 v0, exec_lo, 0
	v_mbcnt_hi_u32_b32 v0, exec_hi, v0
	v_cmp_eq_u32_e32 vcc, 0, v0
	s_and_saveexec_b64 s[0:1], vcc
	s_xor_b64 s[0:1], exec, s[0:1]
	s_cbranch_execz .LBB30_33
; %bb.50:
	v_mov_b32_e32 v0, 0
	v_mov_b32_e32 v1, s2
	global_atomic_smin v0, v1, s[20:21]
	s_endpgm
	.section	.rodata,"a",@progbits
	.p2align	6, 0x0
	.amdhsa_kernel _ZN9rocsparseL18bsrsv_lower_sharedILj128ELj64ELi16ELb1EdEEviNS_24const_host_device_scalarIT3_EEPKiS5_PKS2_iS7_PS2_PiS9_S9_21rocsparse_index_base_20rocsparse_diag_type_20rocsparse_direction_b
		.amdhsa_group_segment_fixed_size 4352
		.amdhsa_private_segment_fixed_size 0
		.amdhsa_kernarg_size 104
		.amdhsa_user_sgpr_count 6
		.amdhsa_user_sgpr_private_segment_buffer 1
		.amdhsa_user_sgpr_dispatch_ptr 0
		.amdhsa_user_sgpr_queue_ptr 0
		.amdhsa_user_sgpr_kernarg_segment_ptr 1
		.amdhsa_user_sgpr_dispatch_id 0
		.amdhsa_user_sgpr_flat_scratch_init 0
		.amdhsa_user_sgpr_private_segment_size 0
		.amdhsa_uses_dynamic_stack 0
		.amdhsa_system_sgpr_private_segment_wavefront_offset 0
		.amdhsa_system_sgpr_workgroup_id_x 1
		.amdhsa_system_sgpr_workgroup_id_y 0
		.amdhsa_system_sgpr_workgroup_id_z 0
		.amdhsa_system_sgpr_workgroup_info 0
		.amdhsa_system_vgpr_workitem_id 0
		.amdhsa_next_free_vgpr 32
		.amdhsa_next_free_sgpr 61
		.amdhsa_reserve_vcc 1
		.amdhsa_reserve_flat_scratch 0
		.amdhsa_float_round_mode_32 0
		.amdhsa_float_round_mode_16_64 0
		.amdhsa_float_denorm_mode_32 3
		.amdhsa_float_denorm_mode_16_64 3
		.amdhsa_dx10_clamp 1
		.amdhsa_ieee_mode 1
		.amdhsa_fp16_overflow 0
		.amdhsa_exception_fp_ieee_invalid_op 0
		.amdhsa_exception_fp_denorm_src 0
		.amdhsa_exception_fp_ieee_div_zero 0
		.amdhsa_exception_fp_ieee_overflow 0
		.amdhsa_exception_fp_ieee_underflow 0
		.amdhsa_exception_fp_ieee_inexact 0
		.amdhsa_exception_int_div_zero 0
	.end_amdhsa_kernel
	.section	.text._ZN9rocsparseL18bsrsv_lower_sharedILj128ELj64ELi16ELb1EdEEviNS_24const_host_device_scalarIT3_EEPKiS5_PKS2_iS7_PS2_PiS9_S9_21rocsparse_index_base_20rocsparse_diag_type_20rocsparse_direction_b,"axG",@progbits,_ZN9rocsparseL18bsrsv_lower_sharedILj128ELj64ELi16ELb1EdEEviNS_24const_host_device_scalarIT3_EEPKiS5_PKS2_iS7_PS2_PiS9_S9_21rocsparse_index_base_20rocsparse_diag_type_20rocsparse_direction_b,comdat
.Lfunc_end30:
	.size	_ZN9rocsparseL18bsrsv_lower_sharedILj128ELj64ELi16ELb1EdEEviNS_24const_host_device_scalarIT3_EEPKiS5_PKS2_iS7_PS2_PiS9_S9_21rocsparse_index_base_20rocsparse_diag_type_20rocsparse_direction_b, .Lfunc_end30-_ZN9rocsparseL18bsrsv_lower_sharedILj128ELj64ELi16ELb1EdEEviNS_24const_host_device_scalarIT3_EEPKiS5_PKS2_iS7_PS2_PiS9_S9_21rocsparse_index_base_20rocsparse_diag_type_20rocsparse_direction_b
                                        ; -- End function
	.set _ZN9rocsparseL18bsrsv_lower_sharedILj128ELj64ELi16ELb1EdEEviNS_24const_host_device_scalarIT3_EEPKiS5_PKS2_iS7_PS2_PiS9_S9_21rocsparse_index_base_20rocsparse_diag_type_20rocsparse_direction_b.num_vgpr, 32
	.set _ZN9rocsparseL18bsrsv_lower_sharedILj128ELj64ELi16ELb1EdEEviNS_24const_host_device_scalarIT3_EEPKiS5_PKS2_iS7_PS2_PiS9_S9_21rocsparse_index_base_20rocsparse_diag_type_20rocsparse_direction_b.num_agpr, 0
	.set _ZN9rocsparseL18bsrsv_lower_sharedILj128ELj64ELi16ELb1EdEEviNS_24const_host_device_scalarIT3_EEPKiS5_PKS2_iS7_PS2_PiS9_S9_21rocsparse_index_base_20rocsparse_diag_type_20rocsparse_direction_b.numbered_sgpr, 35
	.set _ZN9rocsparseL18bsrsv_lower_sharedILj128ELj64ELi16ELb1EdEEviNS_24const_host_device_scalarIT3_EEPKiS5_PKS2_iS7_PS2_PiS9_S9_21rocsparse_index_base_20rocsparse_diag_type_20rocsparse_direction_b.num_named_barrier, 0
	.set _ZN9rocsparseL18bsrsv_lower_sharedILj128ELj64ELi16ELb1EdEEviNS_24const_host_device_scalarIT3_EEPKiS5_PKS2_iS7_PS2_PiS9_S9_21rocsparse_index_base_20rocsparse_diag_type_20rocsparse_direction_b.private_seg_size, 0
	.set _ZN9rocsparseL18bsrsv_lower_sharedILj128ELj64ELi16ELb1EdEEviNS_24const_host_device_scalarIT3_EEPKiS5_PKS2_iS7_PS2_PiS9_S9_21rocsparse_index_base_20rocsparse_diag_type_20rocsparse_direction_b.uses_vcc, 1
	.set _ZN9rocsparseL18bsrsv_lower_sharedILj128ELj64ELi16ELb1EdEEviNS_24const_host_device_scalarIT3_EEPKiS5_PKS2_iS7_PS2_PiS9_S9_21rocsparse_index_base_20rocsparse_diag_type_20rocsparse_direction_b.uses_flat_scratch, 0
	.set _ZN9rocsparseL18bsrsv_lower_sharedILj128ELj64ELi16ELb1EdEEviNS_24const_host_device_scalarIT3_EEPKiS5_PKS2_iS7_PS2_PiS9_S9_21rocsparse_index_base_20rocsparse_diag_type_20rocsparse_direction_b.has_dyn_sized_stack, 0
	.set _ZN9rocsparseL18bsrsv_lower_sharedILj128ELj64ELi16ELb1EdEEviNS_24const_host_device_scalarIT3_EEPKiS5_PKS2_iS7_PS2_PiS9_S9_21rocsparse_index_base_20rocsparse_diag_type_20rocsparse_direction_b.has_recursion, 0
	.set _ZN9rocsparseL18bsrsv_lower_sharedILj128ELj64ELi16ELb1EdEEviNS_24const_host_device_scalarIT3_EEPKiS5_PKS2_iS7_PS2_PiS9_S9_21rocsparse_index_base_20rocsparse_diag_type_20rocsparse_direction_b.has_indirect_call, 0
	.section	.AMDGPU.csdata,"",@progbits
; Kernel info:
; codeLenInByte = 1880
; TotalNumSgprs: 39
; NumVgprs: 32
; ScratchSize: 0
; MemoryBound: 0
; FloatMode: 240
; IeeeMode: 1
; LDSByteSize: 4352 bytes/workgroup (compile time only)
; SGPRBlocks: 8
; VGPRBlocks: 7
; NumSGPRsForWavesPerEU: 65
; NumVGPRsForWavesPerEU: 32
; Occupancy: 8
; WaveLimiterHint : 1
; COMPUTE_PGM_RSRC2:SCRATCH_EN: 0
; COMPUTE_PGM_RSRC2:USER_SGPR: 6
; COMPUTE_PGM_RSRC2:TRAP_HANDLER: 0
; COMPUTE_PGM_RSRC2:TGID_X_EN: 1
; COMPUTE_PGM_RSRC2:TGID_Y_EN: 0
; COMPUTE_PGM_RSRC2:TGID_Z_EN: 0
; COMPUTE_PGM_RSRC2:TIDIG_COMP_CNT: 0
	.section	.text._ZN9rocsparseL18bsrsv_lower_sharedILj128ELj64ELi16ELb0EdEEviNS_24const_host_device_scalarIT3_EEPKiS5_PKS2_iS7_PS2_PiS9_S9_21rocsparse_index_base_20rocsparse_diag_type_20rocsparse_direction_b,"axG",@progbits,_ZN9rocsparseL18bsrsv_lower_sharedILj128ELj64ELi16ELb0EdEEviNS_24const_host_device_scalarIT3_EEPKiS5_PKS2_iS7_PS2_PiS9_S9_21rocsparse_index_base_20rocsparse_diag_type_20rocsparse_direction_b,comdat
	.globl	_ZN9rocsparseL18bsrsv_lower_sharedILj128ELj64ELi16ELb0EdEEviNS_24const_host_device_scalarIT3_EEPKiS5_PKS2_iS7_PS2_PiS9_S9_21rocsparse_index_base_20rocsparse_diag_type_20rocsparse_direction_b ; -- Begin function _ZN9rocsparseL18bsrsv_lower_sharedILj128ELj64ELi16ELb0EdEEviNS_24const_host_device_scalarIT3_EEPKiS5_PKS2_iS7_PS2_PiS9_S9_21rocsparse_index_base_20rocsparse_diag_type_20rocsparse_direction_b
	.p2align	8
	.type	_ZN9rocsparseL18bsrsv_lower_sharedILj128ELj64ELi16ELb0EdEEviNS_24const_host_device_scalarIT3_EEPKiS5_PKS2_iS7_PS2_PiS9_S9_21rocsparse_index_base_20rocsparse_diag_type_20rocsparse_direction_b,@function
_ZN9rocsparseL18bsrsv_lower_sharedILj128ELj64ELi16ELb0EdEEviNS_24const_host_device_scalarIT3_EEPKiS5_PKS2_iS7_PS2_PiS9_S9_21rocsparse_index_base_20rocsparse_diag_type_20rocsparse_direction_b: ; @_ZN9rocsparseL18bsrsv_lower_sharedILj128ELj64ELi16ELb0EdEEviNS_24const_host_device_scalarIT3_EEPKiS5_PKS2_iS7_PS2_PiS9_S9_21rocsparse_index_base_20rocsparse_diag_type_20rocsparse_direction_b
; %bb.0:
	s_load_dwordx4 s[8:11], s[4:5], 0x58
	s_load_dwordx2 s[0:1], s[4:5], 0x8
	s_waitcnt lgkmcnt(0)
	s_bitcmp1_b32 s11, 0
	s_cselect_b64 s[2:3], -1, 0
	v_mov_b32_e32 v6, s1
	s_and_b64 vcc, exec, s[2:3]
	v_mov_b32_e32 v5, s0
	s_cbranch_vccnz .LBB31_2
; %bb.1:
	v_mov_b32_e32 v2, s1
	v_mov_b32_e32 v1, s0
	flat_load_dwordx2 v[5:6], v[1:2]
.LBB31_2:
	s_load_dword s7, s[4:5], 0x0
	s_lshl_b32 s0, s6, 1
	v_lshrrev_b32_e32 v12, 6, v0
	s_and_b32 s0, s0, 0x3fffffe
	v_or_b32_e32 v1, s0, v12
	s_waitcnt lgkmcnt(0)
	v_cmp_gt_i32_e32 vcc, s7, v1
	s_and_saveexec_b64 s[0:1], vcc
	s_cbranch_execz .LBB31_31
; %bb.3:
	s_load_dwordx2 s[0:1], s[4:5], 0x48
	s_load_dwordx4 s[12:15], s[4:5], 0x38
	v_lshlrev_b32_e32 v1, 2, v1
	s_waitcnt lgkmcnt(0)
	global_load_dword v1, v1, s[0:1]
	s_load_dwordx2 s[0:1], s[4:5], 0x10
	s_load_dword s33, s[4:5], 0x28
	s_waitcnt lgkmcnt(0)
	v_mov_b32_e32 v4, s1
	s_waitcnt vmcnt(0)
	v_ashrrev_i32_e32 v2, 31, v1
	v_lshlrev_b64 v[2:3], 2, v[1:2]
	v_add_co_u32_e32 v7, vcc, s0, v2
	v_addc_co_u32_e32 v8, vcc, v4, v3, vcc
	global_load_dwordx2 v[9:10], v[7:8], off
	v_and_b32_e32 v4, 63, v0
	v_mov_b32_e32 v7, 0
	v_mov_b32_e32 v8, 0
	v_cmp_gt_i32_e64 s[0:1], s33, v4
	s_and_saveexec_b64 s[2:3], s[0:1]
	s_cbranch_execz .LBB31_5
; %bb.4:
	v_mad_u64_u32 v[7:8], s[16:17], v1, s33, v[4:5]
	s_load_dwordx2 s[16:17], s[4:5], 0x30
	v_ashrrev_i32_e32 v8, 31, v7
	v_lshlrev_b64 v[7:8], 3, v[7:8]
	s_waitcnt lgkmcnt(0)
	v_mov_b32_e32 v11, s17
	v_add_co_u32_e32 v7, vcc, s16, v7
	v_addc_co_u32_e32 v8, vcc, v11, v8, vcc
	global_load_dwordx2 v[7:8], v[7:8], off
.LBB31_5:
	s_or_b64 exec, exec, s[2:3]
	s_waitcnt vmcnt(0)
	v_mul_f64 v[5:6], v[5:6], v[7:8]
	s_load_dwordx2 s[20:21], s[4:5], 0x50
	v_lshlrev_b32_e32 v11, 11, v12
	v_cmp_lt_i32_e32 vcc, v9, v10
	v_mov_b32_e32 v8, s7
	s_and_saveexec_b64 s[22:23], vcc
	s_cbranch_execz .LBB31_28
; %bb.6:
	v_mov_b32_e32 v7, 0x1000
	v_lshl_or_b32 v12, v12, 7, v7
	v_subrev_u32_e32 v7, s8, v9
	v_and_b32_e32 v0, 15, v0
	v_mad_u64_u32 v[8:9], s[6:7], s33, v7, v[0:1]
	s_load_dwordx4 s[16:19], s[4:5], 0x18
	v_lshrrev_b32_e32 v14, 4, v4
	v_mul_lo_u32 v17, s33, v8
	v_lshlrev_b32_e32 v9, 3, v4
	s_cmp_lg_u32 s10, 0
	v_add_u32_e32 v15, v12, v9
	v_add_u32_e32 v16, v11, v9
	v_lshlrev_b32_e32 v8, 7, v14
	v_lshlrev_b32_e32 v9, 3, v0
	v_subrev_u32_e32 v13, s8, v10
	v_cmp_gt_i32_e64 s[2:3], s33, v0
	s_cselect_b64 s[10:11], -1, 0
	v_cmp_gt_u32_e64 s[4:5], 16, v4
	s_mul_i32 s34, s33, s33
	v_add3_u32 v18, v11, v8, v9
	s_mov_b64 s[24:25], 0
	s_waitcnt lgkmcnt(0)
	v_mov_b32_e32 v19, s17
	s_branch .LBB31_9
.LBB31_7:                               ;   in Loop: Header=BB31_9 Depth=1
	s_or_b64 exec, exec, s[6:7]
.LBB31_8:                               ;   in Loop: Header=BB31_9 Depth=1
	s_or_b64 exec, exec, s[26:27]
	v_add_u32_e32 v7, 1, v7
	v_cmp_ge_i32_e64 s[6:7], v7, v13
	s_xor_b64 s[26:27], vcc, -1
	s_or_b64 s[6:7], s[26:27], s[6:7]
	s_and_b64 s[6:7], exec, s[6:7]
	s_or_b64 s[24:25], s[6:7], s[24:25]
	v_add_u32_e32 v17, s34, v17
	s_andn2_b64 exec, exec, s[24:25]
	s_cbranch_execz .LBB31_27
.LBB31_9:                               ; =>This Loop Header: Depth=1
                                        ;     Child Loop BB31_12 Depth 2
                                        ;     Child Loop BB31_20 Depth 2
	v_ashrrev_i32_e32 v8, 31, v7
	v_lshlrev_b64 v[8:9], 2, v[7:8]
	v_mul_lo_u32 v20, v7, s33
	v_add_co_u32_e32 v8, vcc, s16, v8
	v_addc_co_u32_e32 v9, vcc, v19, v9, vcc
	global_load_dword v10, v[8:9], off
	s_mov_b64 s[6:7], 0
	v_mov_b32_e32 v21, v18
	v_mov_b32_e32 v22, v14
	s_branch .LBB31_12
.LBB31_10:                              ;   in Loop: Header=BB31_12 Depth=2
	v_ashrrev_i32_e32 v9, 31, v8
	v_lshlrev_b64 v[8:9], 3, v[8:9]
	v_mov_b32_e32 v23, s19
	v_add_co_u32_e32 v8, vcc, s18, v8
	v_addc_co_u32_e32 v9, vcc, v23, v9, vcc
	global_load_dwordx2 v[8:9], v[8:9], off
.LBB31_11:                              ;   in Loop: Header=BB31_12 Depth=2
	s_or_b64 exec, exec, s[26:27]
	s_waitcnt vmcnt(0)
	ds_write_b64 v21, v[8:9]
	v_add_u32_e32 v8, 4, v22
	v_cmp_lt_u32_e32 vcc, 11, v22
	v_add_u32_e32 v21, 0x200, v21
	s_or_b64 s[6:7], vcc, s[6:7]
	v_mov_b32_e32 v22, v8
	s_andn2_b64 exec, exec, s[6:7]
	s_cbranch_execz .LBB31_17
.LBB31_12:                              ;   Parent Loop BB31_9 Depth=1
                                        ; =>  This Inner Loop Header: Depth=2
	v_cmp_gt_i32_e32 vcc, s33, v22
	v_mov_b32_e32 v8, 0
	v_mov_b32_e32 v9, 0
	s_and_b64 s[28:29], s[2:3], vcc
	s_and_saveexec_b64 s[26:27], s[28:29]
	s_cbranch_execz .LBB31_11
; %bb.13:                               ;   in Loop: Header=BB31_12 Depth=2
	s_and_b64 vcc, exec, s[10:11]
	s_cbranch_vccz .LBB31_15
; %bb.14:                               ;   in Loop: Header=BB31_12 Depth=2
	v_add_u32_e32 v8, v22, v20
	v_mad_u64_u32 v[8:9], s[28:29], v8, s33, v[0:1]
	s_cbranch_execnz .LBB31_10
	s_branch .LBB31_16
.LBB31_15:                              ;   in Loop: Header=BB31_12 Depth=2
                                        ; implicit-def: $vgpr8
.LBB31_16:                              ;   in Loop: Header=BB31_12 Depth=2
	v_add_u32_e32 v8, v17, v22
	s_branch .LBB31_10
.LBB31_17:                              ;   in Loop: Header=BB31_9 Depth=1
	s_or_b64 exec, exec, s[6:7]
	v_subrev_u32_e32 v8, s8, v10
	v_cmp_lt_i32_e32 vcc, v8, v1
	s_and_saveexec_b64 s[26:27], vcc
	s_cbranch_execz .LBB31_8
; %bb.18:                               ;   in Loop: Header=BB31_9 Depth=1
	v_ashrrev_i32_e32 v9, 31, v8
	v_lshlrev_b64 v[9:10], 2, v[8:9]
	v_mov_b32_e32 v20, s15
	v_add_co_u32_e64 v9, s[6:7], s14, v9
	v_addc_co_u32_e64 v10, s[6:7], v20, v10, s[6:7]
	global_load_dword v20, v[9:10], off glc
	s_waitcnt vmcnt(0)
	v_cmp_eq_u32_e64 s[6:7], 0, v20
	s_and_saveexec_b64 s[28:29], s[6:7]
	s_cbranch_execz .LBB31_21
; %bb.19:                               ;   in Loop: Header=BB31_9 Depth=1
	s_mov_b64 s[30:31], 0
.LBB31_20:                              ;   Parent Loop BB31_9 Depth=1
                                        ; =>  This Inner Loop Header: Depth=2
	global_load_dword v20, v[9:10], off glc
	s_waitcnt vmcnt(0)
	v_cmp_ne_u32_e64 s[6:7], 0, v20
	s_or_b64 s[30:31], s[6:7], s[30:31]
	s_andn2_b64 exec, exec, s[30:31]
	s_cbranch_execnz .LBB31_20
.LBB31_21:                              ;   in Loop: Header=BB31_9 Depth=1
	s_or_b64 exec, exec, s[28:29]
	s_waitcnt lgkmcnt(0)
	buffer_wbinvl1_vol
	s_and_saveexec_b64 s[28:29], s[4:5]
	s_cbranch_execz .LBB31_25
; %bb.22:                               ;   in Loop: Header=BB31_9 Depth=1
	v_mov_b32_e32 v9, 0
	v_mov_b32_e32 v10, 0
	s_and_saveexec_b64 s[30:31], s[0:1]
	s_cbranch_execz .LBB31_24
; %bb.23:                               ;   in Loop: Header=BB31_9 Depth=1
	v_mad_u64_u32 v[9:10], s[6:7], v8, s33, v[4:5]
	v_mov_b32_e32 v20, s13
	v_ashrrev_i32_e32 v10, 31, v9
	v_lshlrev_b64 v[9:10], 3, v[9:10]
	v_add_co_u32_e64 v9, s[6:7], s12, v9
	v_addc_co_u32_e64 v10, s[6:7], v20, v10, s[6:7]
	global_load_dwordx2 v[9:10], v[9:10], off
.LBB31_24:                              ;   in Loop: Header=BB31_9 Depth=1
	s_or_b64 exec, exec, s[30:31]
	s_waitcnt vmcnt(0)
	ds_write_b64 v15, v[9:10]
.LBB31_25:                              ;   in Loop: Header=BB31_9 Depth=1
	s_or_b64 exec, exec, s[28:29]
	s_waitcnt lgkmcnt(0)
	s_and_saveexec_b64 s[6:7], s[0:1]
	s_cbranch_execz .LBB31_7
; %bb.26:                               ;   in Loop: Header=BB31_9 Depth=1
	ds_read2_b64 v[20:23], v16 offset1:16
	ds_read_b128 v[24:27], v12
	ds_read_b128 v[28:31], v12 offset:16
	s_waitcnt lgkmcnt(1)
	v_fma_f64 v[5:6], -v[20:21], v[24:25], v[5:6]
	v_fma_f64 v[5:6], -v[22:23], v[26:27], v[5:6]
	ds_read2_b64 v[20:23], v16 offset0:32 offset1:48
	s_waitcnt lgkmcnt(0)
	v_fma_f64 v[5:6], -v[20:21], v[28:29], v[5:6]
	v_fma_f64 v[5:6], -v[22:23], v[30:31], v[5:6]
	ds_read2_b64 v[20:23], v16 offset0:64 offset1:80
	ds_read_b128 v[24:27], v12 offset:32
	ds_read_b128 v[28:31], v12 offset:48
	s_waitcnt lgkmcnt(1)
	v_fma_f64 v[5:6], -v[20:21], v[24:25], v[5:6]
	v_fma_f64 v[5:6], -v[22:23], v[26:27], v[5:6]
	ds_read2_b64 v[20:23], v16 offset0:96 offset1:112
	s_waitcnt lgkmcnt(0)
	v_fma_f64 v[5:6], -v[20:21], v[28:29], v[5:6]
	v_fma_f64 v[5:6], -v[22:23], v[30:31], v[5:6]
	ds_read2_b64 v[20:23], v16 offset0:128 offset1:144
	ds_read_b128 v[24:27], v12 offset:64
	;; [unrolled: 10-line block ×3, first 2 shown]
	ds_read_b128 v[28:31], v12 offset:112
	s_waitcnt lgkmcnt(1)
	v_fma_f64 v[5:6], -v[20:21], v[24:25], v[5:6]
	v_fma_f64 v[5:6], -v[22:23], v[26:27], v[5:6]
	ds_read2_b64 v[20:23], v16 offset0:224 offset1:240
	s_waitcnt lgkmcnt(0)
	v_fma_f64 v[5:6], -v[20:21], v[28:29], v[5:6]
	v_fma_f64 v[5:6], -v[22:23], v[30:31], v[5:6]
	s_branch .LBB31_7
.LBB31_27:
	s_or_b64 exec, exec, s[24:25]
.LBB31_28:
	s_or_b64 exec, exec, s[22:23]
	s_cmp_gt_i32 s33, 0
	v_cmp_eq_u32_e32 vcc, v8, v1
	s_cselect_b64 s[2:3], -1, 0
	s_mov_b32 s22, 0
	s_and_b64 s[4:5], s[2:3], vcc
	s_mov_b64 s[2:3], 0
	s_and_saveexec_b64 s[6:7], s[4:5]
	s_cbranch_execnz .LBB31_32
; %bb.29:
	s_or_b64 exec, exec, s[6:7]
	s_and_saveexec_b64 s[4:5], s[0:1]
	s_cbranch_execnz .LBB31_43
.LBB31_30:
	s_or_b64 exec, exec, s[4:5]
	v_cmp_eq_u32_e32 vcc, 0, v4
	s_and_b64 exec, exec, vcc
	s_cbranch_execnz .LBB31_44
.LBB31_31:
	s_endpgm
.LBB31_32:
	s_cmp_eq_u32 s9, 0
	v_mbcnt_lo_u32_b32 v0, -1, 0
	s_cselect_b64 s[2:3], -1, 0
	v_mbcnt_hi_u32_b32 v0, -1, v0
	v_cndmask_b32_e64 v7, 0, 1, s[2:3]
	v_and_b32_e32 v0, 64, v0
	v_lshl_add_u32 v12, v4, 3, v11
	s_mov_b64 s[10:11], 0
	v_cmp_ne_u32_e64 s[2:3], 1, v7
	s_branch .LBB31_35
.LBB31_33:                              ;   in Loop: Header=BB31_35 Depth=1
	s_or_b64 exec, exec, s[18:19]
.LBB31_34:                              ;   in Loop: Header=BB31_35 Depth=1
	s_or_b64 exec, exec, s[16:17]
	s_or_b64 s[10:11], s[4:5], s[10:11]
	s_add_i32 s22, s22, 1
	v_add_u32_e32 v12, 0x80, v12
	s_cmp_lg_u32 s33, s22
	v_add_u32_e32 v11, 0x88, v11
	s_cbranch_scc0 .LBB31_42
.LBB31_35:                              ; =>This Inner Loop Header: Depth=1
	v_mov_b32_e32 v7, 0
	v_mov_b32_e32 v8, 0x3ff00000
	s_and_b64 vcc, exec, s[2:3]
	s_cbranch_vccnz .LBB31_37
; %bb.36:                               ;   in Loop: Header=BB31_35 Depth=1
	ds_read_b64 v[7:8], v11
.LBB31_37:                              ;   in Loop: Header=BB31_35 Depth=1
	s_waitcnt lgkmcnt(0)
	v_cmp_eq_f64_e64 s[4:5], 0, v[7:8]
	v_and_or_b32 v9, s22, 63, v0
	v_lshlrev_b32_e32 v10, 2, v9
	ds_bpermute_b32 v9, v10, v5
	ds_bpermute_b32 v10, v10, v6
	s_and_saveexec_b64 s[16:17], s[0:1]
	s_cbranch_execz .LBB31_34
; %bb.38:                               ;   in Loop: Header=BB31_35 Depth=1
	s_waitcnt lgkmcnt(0)
	v_div_scale_f64 v[13:14], s[18:19], v[7:8], v[7:8], v[9:10]
	v_rcp_f64_e32 v[15:16], v[13:14]
	v_fma_f64 v[17:18], -v[13:14], v[15:16], 1.0
	v_fma_f64 v[15:16], v[15:16], v[17:18], v[15:16]
	v_div_scale_f64 v[17:18], vcc, v[9:10], v[7:8], v[9:10]
	v_fma_f64 v[19:20], -v[13:14], v[15:16], 1.0
	v_fma_f64 v[15:16], v[15:16], v[19:20], v[15:16]
	v_mul_f64 v[19:20], v[17:18], v[15:16]
	v_fma_f64 v[13:14], -v[13:14], v[19:20], v[17:18]
	v_div_fmas_f64 v[13:14], v[13:14], v[15:16], v[19:20]
	v_cmp_ge_u32_e32 vcc, s22, v4
	v_div_fixup_f64 v[7:8], v[13:14], v[7:8], v[9:10]
	v_cndmask_b32_e64 v8, v8, v10, s[4:5]
	v_cndmask_b32_e64 v7, v7, v9, s[4:5]
	s_and_saveexec_b64 s[18:19], vcc
	s_xor_b64 s[18:19], exec, s[18:19]
; %bb.39:                               ;   in Loop: Header=BB31_35 Depth=1
	v_cmp_eq_u32_e32 vcc, s22, v4
	v_cndmask_b32_e32 v6, v6, v8, vcc
	v_cndmask_b32_e32 v5, v5, v7, vcc
                                        ; implicit-def: $vgpr7_vgpr8
; %bb.40:                               ;   in Loop: Header=BB31_35 Depth=1
	s_andn2_saveexec_b64 s[18:19], s[18:19]
	s_cbranch_execz .LBB31_33
; %bb.41:                               ;   in Loop: Header=BB31_35 Depth=1
	ds_read_b64 v[9:10], v12
	s_waitcnt lgkmcnt(0)
	v_fma_f64 v[5:6], -v[7:8], v[9:10], v[5:6]
	s_branch .LBB31_33
.LBB31_42:
	s_and_b64 s[2:3], s[10:11], exec
	s_or_b64 exec, exec, s[6:7]
	s_and_saveexec_b64 s[4:5], s[0:1]
	s_cbranch_execz .LBB31_30
.LBB31_43:
	v_mad_u64_u32 v[7:8], s[0:1], v1, s33, v[4:5]
	v_mov_b32_e32 v0, s13
	v_ashrrev_i32_e32 v8, 31, v7
	v_lshlrev_b64 v[7:8], 3, v[7:8]
	v_add_co_u32_e32 v7, vcc, s12, v7
	v_addc_co_u32_e32 v8, vcc, v0, v8, vcc
	global_store_dwordx2 v[7:8], v[5:6], off
	s_or_b64 exec, exec, s[4:5]
	v_cmp_eq_u32_e32 vcc, 0, v4
	s_and_b64 exec, exec, vcc
	s_cbranch_execz .LBB31_31
.LBB31_44:
	v_mov_b32_e32 v0, s15
	v_add_co_u32_e32 v2, vcc, s14, v2
	v_addc_co_u32_e32 v3, vcc, v0, v3, vcc
	v_mov_b32_e32 v0, 1
	s_waitcnt vmcnt(0) lgkmcnt(0)
	global_store_dword v[2:3], v0, off
	s_and_b64 exec, exec, s[2:3]
	s_cbranch_execz .LBB31_31
; %bb.45:
	s_mov_b64 s[0:1], exec
	v_add_u32_e32 v0, s8, v1
	s_brev_b32 s2, -2
.LBB31_46:                              ; =>This Inner Loop Header: Depth=1
	s_ff1_i32_b64 s3, s[0:1]
	v_readlane_b32 s6, v0, s3
	s_lshl_b64 s[4:5], 1, s3
	s_min_i32 s2, s2, s6
	s_andn2_b64 s[0:1], s[0:1], s[4:5]
	s_cmp_lg_u64 s[0:1], 0
	s_cbranch_scc1 .LBB31_46
; %bb.47:
	v_mbcnt_lo_u32_b32 v0, exec_lo, 0
	v_mbcnt_hi_u32_b32 v0, exec_hi, v0
	v_cmp_eq_u32_e32 vcc, 0, v0
	s_and_saveexec_b64 s[0:1], vcc
	s_xor_b64 s[0:1], exec, s[0:1]
	s_cbranch_execz .LBB31_31
; %bb.48:
	v_mov_b32_e32 v0, 0
	v_mov_b32_e32 v1, s2
	global_atomic_smin v0, v1, s[20:21]
	s_endpgm
	.section	.rodata,"a",@progbits
	.p2align	6, 0x0
	.amdhsa_kernel _ZN9rocsparseL18bsrsv_lower_sharedILj128ELj64ELi16ELb0EdEEviNS_24const_host_device_scalarIT3_EEPKiS5_PKS2_iS7_PS2_PiS9_S9_21rocsparse_index_base_20rocsparse_diag_type_20rocsparse_direction_b
		.amdhsa_group_segment_fixed_size 4352
		.amdhsa_private_segment_fixed_size 0
		.amdhsa_kernarg_size 104
		.amdhsa_user_sgpr_count 6
		.amdhsa_user_sgpr_private_segment_buffer 1
		.amdhsa_user_sgpr_dispatch_ptr 0
		.amdhsa_user_sgpr_queue_ptr 0
		.amdhsa_user_sgpr_kernarg_segment_ptr 1
		.amdhsa_user_sgpr_dispatch_id 0
		.amdhsa_user_sgpr_flat_scratch_init 0
		.amdhsa_user_sgpr_private_segment_size 0
		.amdhsa_uses_dynamic_stack 0
		.amdhsa_system_sgpr_private_segment_wavefront_offset 0
		.amdhsa_system_sgpr_workgroup_id_x 1
		.amdhsa_system_sgpr_workgroup_id_y 0
		.amdhsa_system_sgpr_workgroup_id_z 0
		.amdhsa_system_sgpr_workgroup_info 0
		.amdhsa_system_vgpr_workitem_id 0
		.amdhsa_next_free_vgpr 32
		.amdhsa_next_free_sgpr 61
		.amdhsa_reserve_vcc 1
		.amdhsa_reserve_flat_scratch 0
		.amdhsa_float_round_mode_32 0
		.amdhsa_float_round_mode_16_64 0
		.amdhsa_float_denorm_mode_32 3
		.amdhsa_float_denorm_mode_16_64 3
		.amdhsa_dx10_clamp 1
		.amdhsa_ieee_mode 1
		.amdhsa_fp16_overflow 0
		.amdhsa_exception_fp_ieee_invalid_op 0
		.amdhsa_exception_fp_denorm_src 0
		.amdhsa_exception_fp_ieee_div_zero 0
		.amdhsa_exception_fp_ieee_overflow 0
		.amdhsa_exception_fp_ieee_underflow 0
		.amdhsa_exception_fp_ieee_inexact 0
		.amdhsa_exception_int_div_zero 0
	.end_amdhsa_kernel
	.section	.text._ZN9rocsparseL18bsrsv_lower_sharedILj128ELj64ELi16ELb0EdEEviNS_24const_host_device_scalarIT3_EEPKiS5_PKS2_iS7_PS2_PiS9_S9_21rocsparse_index_base_20rocsparse_diag_type_20rocsparse_direction_b,"axG",@progbits,_ZN9rocsparseL18bsrsv_lower_sharedILj128ELj64ELi16ELb0EdEEviNS_24const_host_device_scalarIT3_EEPKiS5_PKS2_iS7_PS2_PiS9_S9_21rocsparse_index_base_20rocsparse_diag_type_20rocsparse_direction_b,comdat
.Lfunc_end31:
	.size	_ZN9rocsparseL18bsrsv_lower_sharedILj128ELj64ELi16ELb0EdEEviNS_24const_host_device_scalarIT3_EEPKiS5_PKS2_iS7_PS2_PiS9_S9_21rocsparse_index_base_20rocsparse_diag_type_20rocsparse_direction_b, .Lfunc_end31-_ZN9rocsparseL18bsrsv_lower_sharedILj128ELj64ELi16ELb0EdEEviNS_24const_host_device_scalarIT3_EEPKiS5_PKS2_iS7_PS2_PiS9_S9_21rocsparse_index_base_20rocsparse_diag_type_20rocsparse_direction_b
                                        ; -- End function
	.set _ZN9rocsparseL18bsrsv_lower_sharedILj128ELj64ELi16ELb0EdEEviNS_24const_host_device_scalarIT3_EEPKiS5_PKS2_iS7_PS2_PiS9_S9_21rocsparse_index_base_20rocsparse_diag_type_20rocsparse_direction_b.num_vgpr, 32
	.set _ZN9rocsparseL18bsrsv_lower_sharedILj128ELj64ELi16ELb0EdEEviNS_24const_host_device_scalarIT3_EEPKiS5_PKS2_iS7_PS2_PiS9_S9_21rocsparse_index_base_20rocsparse_diag_type_20rocsparse_direction_b.num_agpr, 0
	.set _ZN9rocsparseL18bsrsv_lower_sharedILj128ELj64ELi16ELb0EdEEviNS_24const_host_device_scalarIT3_EEPKiS5_PKS2_iS7_PS2_PiS9_S9_21rocsparse_index_base_20rocsparse_diag_type_20rocsparse_direction_b.numbered_sgpr, 35
	.set _ZN9rocsparseL18bsrsv_lower_sharedILj128ELj64ELi16ELb0EdEEviNS_24const_host_device_scalarIT3_EEPKiS5_PKS2_iS7_PS2_PiS9_S9_21rocsparse_index_base_20rocsparse_diag_type_20rocsparse_direction_b.num_named_barrier, 0
	.set _ZN9rocsparseL18bsrsv_lower_sharedILj128ELj64ELi16ELb0EdEEviNS_24const_host_device_scalarIT3_EEPKiS5_PKS2_iS7_PS2_PiS9_S9_21rocsparse_index_base_20rocsparse_diag_type_20rocsparse_direction_b.private_seg_size, 0
	.set _ZN9rocsparseL18bsrsv_lower_sharedILj128ELj64ELi16ELb0EdEEviNS_24const_host_device_scalarIT3_EEPKiS5_PKS2_iS7_PS2_PiS9_S9_21rocsparse_index_base_20rocsparse_diag_type_20rocsparse_direction_b.uses_vcc, 1
	.set _ZN9rocsparseL18bsrsv_lower_sharedILj128ELj64ELi16ELb0EdEEviNS_24const_host_device_scalarIT3_EEPKiS5_PKS2_iS7_PS2_PiS9_S9_21rocsparse_index_base_20rocsparse_diag_type_20rocsparse_direction_b.uses_flat_scratch, 0
	.set _ZN9rocsparseL18bsrsv_lower_sharedILj128ELj64ELi16ELb0EdEEviNS_24const_host_device_scalarIT3_EEPKiS5_PKS2_iS7_PS2_PiS9_S9_21rocsparse_index_base_20rocsparse_diag_type_20rocsparse_direction_b.has_dyn_sized_stack, 0
	.set _ZN9rocsparseL18bsrsv_lower_sharedILj128ELj64ELi16ELb0EdEEviNS_24const_host_device_scalarIT3_EEPKiS5_PKS2_iS7_PS2_PiS9_S9_21rocsparse_index_base_20rocsparse_diag_type_20rocsparse_direction_b.has_recursion, 0
	.set _ZN9rocsparseL18bsrsv_lower_sharedILj128ELj64ELi16ELb0EdEEviNS_24const_host_device_scalarIT3_EEPKiS5_PKS2_iS7_PS2_PiS9_S9_21rocsparse_index_base_20rocsparse_diag_type_20rocsparse_direction_b.has_indirect_call, 0
	.section	.AMDGPU.csdata,"",@progbits
; Kernel info:
; codeLenInByte = 1824
; TotalNumSgprs: 39
; NumVgprs: 32
; ScratchSize: 0
; MemoryBound: 0
; FloatMode: 240
; IeeeMode: 1
; LDSByteSize: 4352 bytes/workgroup (compile time only)
; SGPRBlocks: 8
; VGPRBlocks: 7
; NumSGPRsForWavesPerEU: 65
; NumVGPRsForWavesPerEU: 32
; Occupancy: 8
; WaveLimiterHint : 1
; COMPUTE_PGM_RSRC2:SCRATCH_EN: 0
; COMPUTE_PGM_RSRC2:USER_SGPR: 6
; COMPUTE_PGM_RSRC2:TRAP_HANDLER: 0
; COMPUTE_PGM_RSRC2:TGID_X_EN: 1
; COMPUTE_PGM_RSRC2:TGID_Y_EN: 0
; COMPUTE_PGM_RSRC2:TGID_Z_EN: 0
; COMPUTE_PGM_RSRC2:TIDIG_COMP_CNT: 0
	.section	.text._ZN9rocsparseL18bsrsv_upper_sharedILj128ELj64ELi16ELb1EdEEviNS_24const_host_device_scalarIT3_EEPKiS5_PKS2_iS7_PS2_PiS9_S9_21rocsparse_index_base_20rocsparse_diag_type_20rocsparse_direction_b,"axG",@progbits,_ZN9rocsparseL18bsrsv_upper_sharedILj128ELj64ELi16ELb1EdEEviNS_24const_host_device_scalarIT3_EEPKiS5_PKS2_iS7_PS2_PiS9_S9_21rocsparse_index_base_20rocsparse_diag_type_20rocsparse_direction_b,comdat
	.globl	_ZN9rocsparseL18bsrsv_upper_sharedILj128ELj64ELi16ELb1EdEEviNS_24const_host_device_scalarIT3_EEPKiS5_PKS2_iS7_PS2_PiS9_S9_21rocsparse_index_base_20rocsparse_diag_type_20rocsparse_direction_b ; -- Begin function _ZN9rocsparseL18bsrsv_upper_sharedILj128ELj64ELi16ELb1EdEEviNS_24const_host_device_scalarIT3_EEPKiS5_PKS2_iS7_PS2_PiS9_S9_21rocsparse_index_base_20rocsparse_diag_type_20rocsparse_direction_b
	.p2align	8
	.type	_ZN9rocsparseL18bsrsv_upper_sharedILj128ELj64ELi16ELb1EdEEviNS_24const_host_device_scalarIT3_EEPKiS5_PKS2_iS7_PS2_PiS9_S9_21rocsparse_index_base_20rocsparse_diag_type_20rocsparse_direction_b,@function
_ZN9rocsparseL18bsrsv_upper_sharedILj128ELj64ELi16ELb1EdEEviNS_24const_host_device_scalarIT3_EEPKiS5_PKS2_iS7_PS2_PiS9_S9_21rocsparse_index_base_20rocsparse_diag_type_20rocsparse_direction_b: ; @_ZN9rocsparseL18bsrsv_upper_sharedILj128ELj64ELi16ELb1EdEEviNS_24const_host_device_scalarIT3_EEPKiS5_PKS2_iS7_PS2_PiS9_S9_21rocsparse_index_base_20rocsparse_diag_type_20rocsparse_direction_b
; %bb.0:
	s_load_dwordx4 s[8:11], s[4:5], 0x58
	s_load_dwordx2 s[0:1], s[4:5], 0x8
	s_waitcnt lgkmcnt(0)
	s_bitcmp1_b32 s11, 0
	s_cselect_b64 s[2:3], -1, 0
	v_mov_b32_e32 v6, s1
	s_and_b64 vcc, exec, s[2:3]
	v_mov_b32_e32 v5, s0
	s_cbranch_vccnz .LBB32_2
; %bb.1:
	v_mov_b32_e32 v2, s1
	v_mov_b32_e32 v1, s0
	flat_load_dwordx2 v[5:6], v[1:2]
.LBB32_2:
	s_load_dword s7, s[4:5], 0x0
	s_lshl_b32 s0, s6, 1
	v_lshrrev_b32_e32 v14, 6, v0
	s_and_b32 s0, s0, 0x3fffffe
	v_or_b32_e32 v1, s0, v14
	s_waitcnt lgkmcnt(0)
	v_cmp_gt_i32_e32 vcc, s7, v1
	s_and_saveexec_b64 s[0:1], vcc
	s_cbranch_execz .LBB32_33
; %bb.3:
	s_load_dwordx2 s[0:1], s[4:5], 0x48
	s_load_dwordx4 s[12:15], s[4:5], 0x38
	v_lshlrev_b32_e32 v1, 2, v1
	v_mov_b32_e32 v9, 0
	v_mov_b32_e32 v10, 0
	s_waitcnt lgkmcnt(0)
	global_load_dword v1, v1, s[0:1]
	s_load_dwordx2 s[0:1], s[4:5], 0x10
	s_load_dword s33, s[4:5], 0x28
	s_waitcnt lgkmcnt(0)
	v_mov_b32_e32 v4, s1
	s_waitcnt vmcnt(0)
	v_ashrrev_i32_e32 v2, 31, v1
	v_lshlrev_b64 v[2:3], 2, v[1:2]
	v_add_co_u32_e32 v7, vcc, s0, v2
	v_addc_co_u32_e32 v8, vcc, v4, v3, vcc
	global_load_dwordx2 v[7:8], v[7:8], off
	v_and_b32_e32 v4, 63, v0
	v_cmp_gt_i32_e64 s[0:1], s33, v4
	s_and_saveexec_b64 s[2:3], s[0:1]
	s_cbranch_execz .LBB32_5
; %bb.4:
	v_mad_u64_u32 v[9:10], s[16:17], v1, s33, v[4:5]
	s_load_dwordx2 s[16:17], s[4:5], 0x30
	v_ashrrev_i32_e32 v10, 31, v9
	v_lshlrev_b64 v[9:10], 3, v[9:10]
	s_waitcnt lgkmcnt(0)
	v_mov_b32_e32 v11, s17
	v_add_co_u32_e32 v9, vcc, s16, v9
	v_addc_co_u32_e32 v10, vcc, v11, v10, vcc
	global_load_dwordx2 v[9:10], v[9:10], off
.LBB32_5:
	s_or_b64 exec, exec, s[2:3]
	s_waitcnt vmcnt(0)
	v_mul_f64 v[5:6], v[5:6], v[9:10]
	s_load_dwordx2 s[20:21], s[4:5], 0x50
	v_subrev_u32_e32 v13, s8, v7
	v_xad_u32 v7, s8, -1, v8
	v_lshlrev_b32_e32 v11, 11, v14
	v_cmp_ge_i32_e32 vcc, v7, v13
	v_mov_b32_e32 v8, s7
	v_lshlrev_b32_e32 v12, 3, v4
	s_and_saveexec_b64 s[22:23], vcc
	s_cbranch_execz .LBB32_30
; %bb.6:
	v_mov_b32_e32 v8, 0x1000
	v_and_b32_e32 v0, 15, v0
	s_load_dwordx4 s[16:19], s[4:5], 0x18
	v_lshl_or_b32 v14, v14, 7, v8
	v_mad_u64_u32 v[8:9], s[4:5], s33, v7, v[0:1]
	v_lshrrev_b32_e32 v15, 4, v4
	s_cmp_lg_u32 s10, 0
	v_mul_lo_u32 v17, s33, v8
	v_lshlrev_b32_e32 v8, 7, v15
	v_lshlrev_b32_e32 v9, 3, v0
	v_cmp_gt_i32_e64 s[2:3], s33, v0
	s_cselect_b64 s[10:11], -1, 0
	v_cmp_gt_u32_e64 s[4:5], 16, v4
	v_add_u32_e32 v16, v11, v12
	s_mul_i32 s34, s33, s33
	v_add3_u32 v18, v11, v8, v9
	s_mov_b64 s[24:25], 0
	s_waitcnt lgkmcnt(0)
	v_mov_b32_e32 v19, s17
	s_branch .LBB32_9
.LBB32_7:                               ;   in Loop: Header=BB32_9 Depth=1
	s_or_b64 exec, exec, s[6:7]
.LBB32_8:                               ;   in Loop: Header=BB32_9 Depth=1
	s_or_b64 exec, exec, s[26:27]
	v_cmp_le_i32_e64 s[6:7], v7, v13
	s_xor_b64 s[26:27], vcc, -1
	s_or_b64 s[6:7], s[26:27], s[6:7]
	v_add_u32_e32 v9, -1, v7
	s_and_b64 s[6:7], exec, s[6:7]
	v_subrev_u32_e32 v17, s34, v17
	s_or_b64 s[24:25], s[6:7], s[24:25]
	v_mov_b32_e32 v7, v9
	s_andn2_b64 exec, exec, s[24:25]
	s_cbranch_execz .LBB32_29
.LBB32_9:                               ; =>This Loop Header: Depth=1
                                        ;     Child Loop BB32_12 Depth 2
                                        ;     Child Loop BB32_21 Depth 2
                                        ;       Child Loop BB32_22 Depth 3
	v_ashrrev_i32_e32 v8, 31, v7
	v_lshlrev_b64 v[8:9], 2, v[7:8]
	v_mul_lo_u32 v20, v7, s33
	v_add_co_u32_e32 v8, vcc, s16, v8
	v_addc_co_u32_e32 v9, vcc, v19, v9, vcc
	global_load_dword v10, v[8:9], off
	s_mov_b64 s[6:7], 0
	v_mov_b32_e32 v21, v18
	v_mov_b32_e32 v22, v15
	s_branch .LBB32_12
.LBB32_10:                              ;   in Loop: Header=BB32_12 Depth=2
	v_ashrrev_i32_e32 v9, 31, v8
	v_lshlrev_b64 v[8:9], 3, v[8:9]
	v_mov_b32_e32 v23, s19
	v_add_co_u32_e32 v8, vcc, s18, v8
	v_addc_co_u32_e32 v9, vcc, v23, v9, vcc
	global_load_dwordx2 v[8:9], v[8:9], off
.LBB32_11:                              ;   in Loop: Header=BB32_12 Depth=2
	s_or_b64 exec, exec, s[26:27]
	s_waitcnt vmcnt(0)
	ds_write_b64 v21, v[8:9]
	v_add_u32_e32 v8, 4, v22
	v_cmp_lt_u32_e32 vcc, 11, v22
	v_add_u32_e32 v21, 0x200, v21
	s_or_b64 s[6:7], vcc, s[6:7]
	v_mov_b32_e32 v22, v8
	s_andn2_b64 exec, exec, s[6:7]
	s_cbranch_execz .LBB32_17
.LBB32_12:                              ;   Parent Loop BB32_9 Depth=1
                                        ; =>  This Inner Loop Header: Depth=2
	v_cmp_gt_i32_e32 vcc, s33, v22
	v_mov_b32_e32 v8, 0
	v_mov_b32_e32 v9, 0
	s_and_b64 s[28:29], s[2:3], vcc
	s_and_saveexec_b64 s[26:27], s[28:29]
	s_cbranch_execz .LBB32_11
; %bb.13:                               ;   in Loop: Header=BB32_12 Depth=2
	s_and_b64 vcc, exec, s[10:11]
	s_cbranch_vccz .LBB32_15
; %bb.14:                               ;   in Loop: Header=BB32_12 Depth=2
	v_add_u32_e32 v8, v22, v20
	v_mad_u64_u32 v[8:9], s[28:29], v8, s33, v[0:1]
	s_cbranch_execnz .LBB32_10
	s_branch .LBB32_16
.LBB32_15:                              ;   in Loop: Header=BB32_12 Depth=2
                                        ; implicit-def: $vgpr8
.LBB32_16:                              ;   in Loop: Header=BB32_12 Depth=2
	v_add_u32_e32 v8, v17, v22
	s_branch .LBB32_10
.LBB32_17:                              ;   in Loop: Header=BB32_9 Depth=1
	s_or_b64 exec, exec, s[6:7]
	v_subrev_u32_e32 v8, s8, v10
	v_cmp_gt_i32_e32 vcc, v8, v1
	s_and_saveexec_b64 s[26:27], vcc
	s_cbranch_execz .LBB32_8
; %bb.18:                               ;   in Loop: Header=BB32_9 Depth=1
	v_ashrrev_i32_e32 v9, 31, v8
	v_lshlrev_b64 v[9:10], 2, v[8:9]
	v_mov_b32_e32 v20, s15
	v_add_co_u32_e64 v9, s[6:7], s14, v9
	v_addc_co_u32_e64 v10, s[6:7], v20, v10, s[6:7]
	global_load_dword v20, v[9:10], off glc
	s_waitcnt vmcnt(0)
	v_cmp_eq_u32_e64 s[6:7], 0, v20
	s_and_saveexec_b64 s[28:29], s[6:7]
	s_cbranch_execz .LBB32_23
; %bb.19:                               ;   in Loop: Header=BB32_9 Depth=1
	s_mov_b32 s17, 0
	s_mov_b64 s[30:31], 0
	s_branch .LBB32_21
.LBB32_20:                              ;   in Loop: Header=BB32_21 Depth=2
	global_load_dword v20, v[9:10], off glc
	s_cmpk_lt_u32 s17, 0xf43
	s_cselect_b64 s[6:7], -1, 0
	s_cmp_lg_u64 s[6:7], 0
	s_addc_u32 s17, s17, 0
	s_waitcnt vmcnt(0)
	v_cmp_ne_u32_e64 s[6:7], 0, v20
	s_or_b64 s[30:31], s[6:7], s[30:31]
	s_andn2_b64 exec, exec, s[30:31]
	s_cbranch_execz .LBB32_23
.LBB32_21:                              ;   Parent Loop BB32_9 Depth=1
                                        ; =>  This Loop Header: Depth=2
                                        ;       Child Loop BB32_22 Depth 3
	s_cmp_eq_u32 s17, 0
	s_mov_b32 s6, s17
	s_cbranch_scc1 .LBB32_20
.LBB32_22:                              ;   Parent Loop BB32_9 Depth=1
                                        ;     Parent Loop BB32_21 Depth=2
                                        ; =>    This Inner Loop Header: Depth=3
	s_add_i32 s6, s6, -1
	s_cmp_eq_u32 s6, 0
	s_sleep 1
	s_cbranch_scc0 .LBB32_22
	s_branch .LBB32_20
.LBB32_23:                              ;   in Loop: Header=BB32_9 Depth=1
	s_or_b64 exec, exec, s[28:29]
	s_waitcnt lgkmcnt(0)
	buffer_wbinvl1_vol
	s_and_saveexec_b64 s[28:29], s[4:5]
	s_cbranch_execz .LBB32_27
; %bb.24:                               ;   in Loop: Header=BB32_9 Depth=1
	v_mov_b32_e32 v9, 0
	v_mov_b32_e32 v10, 0
	s_and_saveexec_b64 s[30:31], s[0:1]
	s_cbranch_execz .LBB32_26
; %bb.25:                               ;   in Loop: Header=BB32_9 Depth=1
	v_mad_u64_u32 v[9:10], s[6:7], v8, s33, v[4:5]
	v_mov_b32_e32 v20, s13
	v_ashrrev_i32_e32 v10, 31, v9
	v_lshlrev_b64 v[9:10], 3, v[9:10]
	v_add_co_u32_e64 v9, s[6:7], s12, v9
	v_addc_co_u32_e64 v10, s[6:7], v20, v10, s[6:7]
	global_load_dwordx2 v[9:10], v[9:10], off
.LBB32_26:                              ;   in Loop: Header=BB32_9 Depth=1
	s_or_b64 exec, exec, s[30:31]
	v_add_u32_e32 v20, v14, v12
	s_waitcnt vmcnt(0)
	ds_write_b64 v20, v[9:10]
.LBB32_27:                              ;   in Loop: Header=BB32_9 Depth=1
	s_or_b64 exec, exec, s[28:29]
	s_waitcnt lgkmcnt(0)
	s_and_saveexec_b64 s[6:7], s[0:1]
	s_cbranch_execz .LBB32_7
; %bb.28:                               ;   in Loop: Header=BB32_9 Depth=1
	ds_read2_b64 v[20:23], v16 offset1:16
	ds_read_b128 v[24:27], v14
	ds_read_b128 v[28:31], v14 offset:16
	s_waitcnt lgkmcnt(1)
	v_fma_f64 v[5:6], -v[20:21], v[24:25], v[5:6]
	v_fma_f64 v[5:6], -v[22:23], v[26:27], v[5:6]
	ds_read2_b64 v[20:23], v16 offset0:32 offset1:48
	s_waitcnt lgkmcnt(0)
	v_fma_f64 v[5:6], -v[20:21], v[28:29], v[5:6]
	v_fma_f64 v[5:6], -v[22:23], v[30:31], v[5:6]
	ds_read2_b64 v[20:23], v16 offset0:64 offset1:80
	ds_read_b128 v[24:27], v14 offset:32
	ds_read_b128 v[28:31], v14 offset:48
	s_waitcnt lgkmcnt(1)
	v_fma_f64 v[5:6], -v[20:21], v[24:25], v[5:6]
	v_fma_f64 v[5:6], -v[22:23], v[26:27], v[5:6]
	ds_read2_b64 v[20:23], v16 offset0:96 offset1:112
	s_waitcnt lgkmcnt(0)
	v_fma_f64 v[5:6], -v[20:21], v[28:29], v[5:6]
	v_fma_f64 v[5:6], -v[22:23], v[30:31], v[5:6]
	ds_read2_b64 v[20:23], v16 offset0:128 offset1:144
	ds_read_b128 v[24:27], v14 offset:64
	;; [unrolled: 10-line block ×3, first 2 shown]
	ds_read_b128 v[28:31], v14 offset:112
	s_waitcnt lgkmcnt(1)
	v_fma_f64 v[5:6], -v[20:21], v[24:25], v[5:6]
	v_fma_f64 v[5:6], -v[22:23], v[26:27], v[5:6]
	ds_read2_b64 v[20:23], v16 offset0:224 offset1:240
	s_waitcnt lgkmcnt(0)
	v_fma_f64 v[5:6], -v[20:21], v[28:29], v[5:6]
	v_fma_f64 v[5:6], -v[22:23], v[30:31], v[5:6]
	s_branch .LBB32_7
.LBB32_29:
	s_or_b64 exec, exec, s[24:25]
.LBB32_30:
	s_or_b64 exec, exec, s[22:23]
	s_cmp_gt_i32 s33, 0
	v_cmp_eq_u32_e32 vcc, v8, v1
	s_cselect_b64 s[2:3], -1, 0
	s_and_b64 s[4:5], s[2:3], vcc
	s_mov_b64 s[2:3], 0
	s_and_saveexec_b64 s[6:7], s[4:5]
	s_cbranch_execnz .LBB32_34
; %bb.31:
	s_or_b64 exec, exec, s[6:7]
	s_and_saveexec_b64 s[4:5], s[0:1]
	s_cbranch_execnz .LBB32_45
.LBB32_32:
	s_or_b64 exec, exec, s[4:5]
	v_cmp_eq_u32_e32 vcc, 0, v4
	s_and_b64 exec, exec, vcc
	s_cbranch_execnz .LBB32_46
.LBB32_33:
	s_endpgm
.LBB32_34:
	v_lshl_add_u32 v7, s33, 7, v11
	s_movk_i32 s4, 0xff80
	s_cmp_eq_u32 s9, 0
	v_add3_u32 v12, v7, v12, s4
	s_mul_i32 s4, s33, 0x88
	s_cselect_b64 s[2:3], -1, 0
	v_mbcnt_lo_u32_b32 v0, -1, 0
	v_add_u32_e32 v7, s4, v11
	v_mbcnt_hi_u32_b32 v0, -1, v0
	v_add_u32_e32 v11, 0xffffff78, v7
	v_cndmask_b32_e64 v7, 0, 1, s[2:3]
	v_and_b32_e32 v0, 64, v0
	s_add_i32 s9, s33, -1
	s_mov_b64 s[10:11], 0
	v_cmp_ne_u32_e64 s[2:3], 1, v7
	v_mov_b32_e32 v7, 0
	v_mov_b32_e32 v8, 0x3ff00000
	s_and_b64 vcc, exec, s[2:3]
	s_cbranch_vccnz .LBB32_36
.LBB32_35:
	ds_read_b64 v[7:8], v11
.LBB32_36:                              ; =>This Inner Loop Header: Depth=1
	s_waitcnt lgkmcnt(0)
	v_cmp_eq_f64_e64 s[4:5], 0, v[7:8]
	v_and_or_b32 v9, s9, 63, v0
	v_lshlrev_b32_e32 v10, 2, v9
	ds_bpermute_b32 v9, v10, v5
	ds_bpermute_b32 v10, v10, v6
	s_and_saveexec_b64 s[16:17], s[0:1]
	s_cbranch_execz .LBB32_42
; %bb.37:                               ;   in Loop: Header=BB32_36 Depth=1
	s_waitcnt lgkmcnt(0)
	v_div_scale_f64 v[13:14], s[18:19], v[7:8], v[7:8], v[9:10]
	v_rcp_f64_e32 v[15:16], v[13:14]
	v_fma_f64 v[17:18], -v[13:14], v[15:16], 1.0
	v_fma_f64 v[15:16], v[15:16], v[17:18], v[15:16]
	v_div_scale_f64 v[17:18], vcc, v[9:10], v[7:8], v[9:10]
	v_fma_f64 v[19:20], -v[13:14], v[15:16], 1.0
	v_fma_f64 v[15:16], v[15:16], v[19:20], v[15:16]
	v_mul_f64 v[19:20], v[17:18], v[15:16]
	v_fma_f64 v[13:14], -v[13:14], v[19:20], v[17:18]
	v_div_fmas_f64 v[13:14], v[13:14], v[15:16], v[19:20]
	v_cmp_le_i32_e32 vcc, s9, v4
	v_div_fixup_f64 v[7:8], v[13:14], v[7:8], v[9:10]
	v_cndmask_b32_e64 v8, v8, v10, s[4:5]
	v_cndmask_b32_e64 v7, v7, v9, s[4:5]
	s_and_saveexec_b64 s[18:19], vcc
	s_xor_b64 s[18:19], exec, s[18:19]
; %bb.38:                               ;   in Loop: Header=BB32_36 Depth=1
	v_cmp_eq_u32_e32 vcc, s9, v4
	v_cndmask_b32_e32 v6, v6, v8, vcc
	v_cndmask_b32_e32 v5, v5, v7, vcc
                                        ; implicit-def: $vgpr7_vgpr8
; %bb.39:                               ;   in Loop: Header=BB32_36 Depth=1
	s_andn2_saveexec_b64 s[18:19], s[18:19]
	s_cbranch_execz .LBB32_41
; %bb.40:                               ;   in Loop: Header=BB32_36 Depth=1
	ds_read_b64 v[9:10], v12
	s_waitcnt lgkmcnt(0)
	v_fma_f64 v[5:6], -v[7:8], v[9:10], v[5:6]
.LBB32_41:                              ;   in Loop: Header=BB32_36 Depth=1
	s_or_b64 exec, exec, s[18:19]
.LBB32_42:                              ;   in Loop: Header=BB32_36 Depth=1
	s_or_b64 exec, exec, s[16:17]
	s_or_b64 s[10:11], s[4:5], s[10:11]
	s_add_i32 s4, s9, -1
	s_add_i32 s5, s9, 1
	v_add_u32_e32 v12, 0xffffff80, v12
	s_cmp_gt_u32 s5, 1
	v_add_u32_e32 v11, 0xffffff78, v11
	s_cbranch_scc0 .LBB32_44
; %bb.43:                               ;   in Loop: Header=BB32_36 Depth=1
	s_mov_b32 s9, s4
	v_mov_b32_e32 v7, 0
	v_mov_b32_e32 v8, 0x3ff00000
	s_and_b64 vcc, exec, s[2:3]
	s_cbranch_vccnz .LBB32_36
	s_branch .LBB32_35
.LBB32_44:
	s_and_b64 s[2:3], s[10:11], exec
	s_or_b64 exec, exec, s[6:7]
	s_and_saveexec_b64 s[4:5], s[0:1]
	s_cbranch_execz .LBB32_32
.LBB32_45:
	v_mad_u64_u32 v[7:8], s[0:1], v1, s33, v[4:5]
	v_mov_b32_e32 v0, s13
	v_ashrrev_i32_e32 v8, 31, v7
	v_lshlrev_b64 v[7:8], 3, v[7:8]
	v_add_co_u32_e32 v7, vcc, s12, v7
	v_addc_co_u32_e32 v8, vcc, v0, v8, vcc
	global_store_dwordx2 v[7:8], v[5:6], off
	s_or_b64 exec, exec, s[4:5]
	v_cmp_eq_u32_e32 vcc, 0, v4
	s_and_b64 exec, exec, vcc
	s_cbranch_execz .LBB32_33
.LBB32_46:
	v_mov_b32_e32 v0, s15
	v_add_co_u32_e32 v2, vcc, s14, v2
	v_addc_co_u32_e32 v3, vcc, v0, v3, vcc
	v_mov_b32_e32 v0, 1
	s_waitcnt vmcnt(0) lgkmcnt(0)
	global_store_dword v[2:3], v0, off
	s_and_b64 exec, exec, s[2:3]
	s_cbranch_execz .LBB32_33
; %bb.47:
	s_mov_b64 s[0:1], exec
	v_add_u32_e32 v0, s8, v1
	s_brev_b32 s2, -2
.LBB32_48:                              ; =>This Inner Loop Header: Depth=1
	s_ff1_i32_b64 s3, s[0:1]
	v_readlane_b32 s6, v0, s3
	s_lshl_b64 s[4:5], 1, s3
	s_min_i32 s2, s2, s6
	s_andn2_b64 s[0:1], s[0:1], s[4:5]
	s_cmp_lg_u64 s[0:1], 0
	s_cbranch_scc1 .LBB32_48
; %bb.49:
	v_mbcnt_lo_u32_b32 v0, exec_lo, 0
	v_mbcnt_hi_u32_b32 v0, exec_hi, v0
	v_cmp_eq_u32_e32 vcc, 0, v0
	s_and_saveexec_b64 s[0:1], vcc
	s_xor_b64 s[0:1], exec, s[0:1]
	s_cbranch_execz .LBB32_33
; %bb.50:
	v_mov_b32_e32 v0, 0
	v_mov_b32_e32 v1, s2
	global_atomic_smin v0, v1, s[20:21]
	s_endpgm
	.section	.rodata,"a",@progbits
	.p2align	6, 0x0
	.amdhsa_kernel _ZN9rocsparseL18bsrsv_upper_sharedILj128ELj64ELi16ELb1EdEEviNS_24const_host_device_scalarIT3_EEPKiS5_PKS2_iS7_PS2_PiS9_S9_21rocsparse_index_base_20rocsparse_diag_type_20rocsparse_direction_b
		.amdhsa_group_segment_fixed_size 4352
		.amdhsa_private_segment_fixed_size 0
		.amdhsa_kernarg_size 104
		.amdhsa_user_sgpr_count 6
		.amdhsa_user_sgpr_private_segment_buffer 1
		.amdhsa_user_sgpr_dispatch_ptr 0
		.amdhsa_user_sgpr_queue_ptr 0
		.amdhsa_user_sgpr_kernarg_segment_ptr 1
		.amdhsa_user_sgpr_dispatch_id 0
		.amdhsa_user_sgpr_flat_scratch_init 0
		.amdhsa_user_sgpr_private_segment_size 0
		.amdhsa_uses_dynamic_stack 0
		.amdhsa_system_sgpr_private_segment_wavefront_offset 0
		.amdhsa_system_sgpr_workgroup_id_x 1
		.amdhsa_system_sgpr_workgroup_id_y 0
		.amdhsa_system_sgpr_workgroup_id_z 0
		.amdhsa_system_sgpr_workgroup_info 0
		.amdhsa_system_vgpr_workitem_id 0
		.amdhsa_next_free_vgpr 32
		.amdhsa_next_free_sgpr 61
		.amdhsa_reserve_vcc 1
		.amdhsa_reserve_flat_scratch 0
		.amdhsa_float_round_mode_32 0
		.amdhsa_float_round_mode_16_64 0
		.amdhsa_float_denorm_mode_32 3
		.amdhsa_float_denorm_mode_16_64 3
		.amdhsa_dx10_clamp 1
		.amdhsa_ieee_mode 1
		.amdhsa_fp16_overflow 0
		.amdhsa_exception_fp_ieee_invalid_op 0
		.amdhsa_exception_fp_denorm_src 0
		.amdhsa_exception_fp_ieee_div_zero 0
		.amdhsa_exception_fp_ieee_overflow 0
		.amdhsa_exception_fp_ieee_underflow 0
		.amdhsa_exception_fp_ieee_inexact 0
		.amdhsa_exception_int_div_zero 0
	.end_amdhsa_kernel
	.section	.text._ZN9rocsparseL18bsrsv_upper_sharedILj128ELj64ELi16ELb1EdEEviNS_24const_host_device_scalarIT3_EEPKiS5_PKS2_iS7_PS2_PiS9_S9_21rocsparse_index_base_20rocsparse_diag_type_20rocsparse_direction_b,"axG",@progbits,_ZN9rocsparseL18bsrsv_upper_sharedILj128ELj64ELi16ELb1EdEEviNS_24const_host_device_scalarIT3_EEPKiS5_PKS2_iS7_PS2_PiS9_S9_21rocsparse_index_base_20rocsparse_diag_type_20rocsparse_direction_b,comdat
.Lfunc_end32:
	.size	_ZN9rocsparseL18bsrsv_upper_sharedILj128ELj64ELi16ELb1EdEEviNS_24const_host_device_scalarIT3_EEPKiS5_PKS2_iS7_PS2_PiS9_S9_21rocsparse_index_base_20rocsparse_diag_type_20rocsparse_direction_b, .Lfunc_end32-_ZN9rocsparseL18bsrsv_upper_sharedILj128ELj64ELi16ELb1EdEEviNS_24const_host_device_scalarIT3_EEPKiS5_PKS2_iS7_PS2_PiS9_S9_21rocsparse_index_base_20rocsparse_diag_type_20rocsparse_direction_b
                                        ; -- End function
	.set _ZN9rocsparseL18bsrsv_upper_sharedILj128ELj64ELi16ELb1EdEEviNS_24const_host_device_scalarIT3_EEPKiS5_PKS2_iS7_PS2_PiS9_S9_21rocsparse_index_base_20rocsparse_diag_type_20rocsparse_direction_b.num_vgpr, 32
	.set _ZN9rocsparseL18bsrsv_upper_sharedILj128ELj64ELi16ELb1EdEEviNS_24const_host_device_scalarIT3_EEPKiS5_PKS2_iS7_PS2_PiS9_S9_21rocsparse_index_base_20rocsparse_diag_type_20rocsparse_direction_b.num_agpr, 0
	.set _ZN9rocsparseL18bsrsv_upper_sharedILj128ELj64ELi16ELb1EdEEviNS_24const_host_device_scalarIT3_EEPKiS5_PKS2_iS7_PS2_PiS9_S9_21rocsparse_index_base_20rocsparse_diag_type_20rocsparse_direction_b.numbered_sgpr, 35
	.set _ZN9rocsparseL18bsrsv_upper_sharedILj128ELj64ELi16ELb1EdEEviNS_24const_host_device_scalarIT3_EEPKiS5_PKS2_iS7_PS2_PiS9_S9_21rocsparse_index_base_20rocsparse_diag_type_20rocsparse_direction_b.num_named_barrier, 0
	.set _ZN9rocsparseL18bsrsv_upper_sharedILj128ELj64ELi16ELb1EdEEviNS_24const_host_device_scalarIT3_EEPKiS5_PKS2_iS7_PS2_PiS9_S9_21rocsparse_index_base_20rocsparse_diag_type_20rocsparse_direction_b.private_seg_size, 0
	.set _ZN9rocsparseL18bsrsv_upper_sharedILj128ELj64ELi16ELb1EdEEviNS_24const_host_device_scalarIT3_EEPKiS5_PKS2_iS7_PS2_PiS9_S9_21rocsparse_index_base_20rocsparse_diag_type_20rocsparse_direction_b.uses_vcc, 1
	.set _ZN9rocsparseL18bsrsv_upper_sharedILj128ELj64ELi16ELb1EdEEviNS_24const_host_device_scalarIT3_EEPKiS5_PKS2_iS7_PS2_PiS9_S9_21rocsparse_index_base_20rocsparse_diag_type_20rocsparse_direction_b.uses_flat_scratch, 0
	.set _ZN9rocsparseL18bsrsv_upper_sharedILj128ELj64ELi16ELb1EdEEviNS_24const_host_device_scalarIT3_EEPKiS5_PKS2_iS7_PS2_PiS9_S9_21rocsparse_index_base_20rocsparse_diag_type_20rocsparse_direction_b.has_dyn_sized_stack, 0
	.set _ZN9rocsparseL18bsrsv_upper_sharedILj128ELj64ELi16ELb1EdEEviNS_24const_host_device_scalarIT3_EEPKiS5_PKS2_iS7_PS2_PiS9_S9_21rocsparse_index_base_20rocsparse_diag_type_20rocsparse_direction_b.has_recursion, 0
	.set _ZN9rocsparseL18bsrsv_upper_sharedILj128ELj64ELi16ELb1EdEEviNS_24const_host_device_scalarIT3_EEPKiS5_PKS2_iS7_PS2_PiS9_S9_21rocsparse_index_base_20rocsparse_diag_type_20rocsparse_direction_b.has_indirect_call, 0
	.section	.AMDGPU.csdata,"",@progbits
; Kernel info:
; codeLenInByte = 1944
; TotalNumSgprs: 39
; NumVgprs: 32
; ScratchSize: 0
; MemoryBound: 0
; FloatMode: 240
; IeeeMode: 1
; LDSByteSize: 4352 bytes/workgroup (compile time only)
; SGPRBlocks: 8
; VGPRBlocks: 7
; NumSGPRsForWavesPerEU: 65
; NumVGPRsForWavesPerEU: 32
; Occupancy: 8
; WaveLimiterHint : 1
; COMPUTE_PGM_RSRC2:SCRATCH_EN: 0
; COMPUTE_PGM_RSRC2:USER_SGPR: 6
; COMPUTE_PGM_RSRC2:TRAP_HANDLER: 0
; COMPUTE_PGM_RSRC2:TGID_X_EN: 1
; COMPUTE_PGM_RSRC2:TGID_Y_EN: 0
; COMPUTE_PGM_RSRC2:TGID_Z_EN: 0
; COMPUTE_PGM_RSRC2:TIDIG_COMP_CNT: 0
	.section	.text._ZN9rocsparseL18bsrsv_upper_sharedILj128ELj64ELi16ELb0EdEEviNS_24const_host_device_scalarIT3_EEPKiS5_PKS2_iS7_PS2_PiS9_S9_21rocsparse_index_base_20rocsparse_diag_type_20rocsparse_direction_b,"axG",@progbits,_ZN9rocsparseL18bsrsv_upper_sharedILj128ELj64ELi16ELb0EdEEviNS_24const_host_device_scalarIT3_EEPKiS5_PKS2_iS7_PS2_PiS9_S9_21rocsparse_index_base_20rocsparse_diag_type_20rocsparse_direction_b,comdat
	.globl	_ZN9rocsparseL18bsrsv_upper_sharedILj128ELj64ELi16ELb0EdEEviNS_24const_host_device_scalarIT3_EEPKiS5_PKS2_iS7_PS2_PiS9_S9_21rocsparse_index_base_20rocsparse_diag_type_20rocsparse_direction_b ; -- Begin function _ZN9rocsparseL18bsrsv_upper_sharedILj128ELj64ELi16ELb0EdEEviNS_24const_host_device_scalarIT3_EEPKiS5_PKS2_iS7_PS2_PiS9_S9_21rocsparse_index_base_20rocsparse_diag_type_20rocsparse_direction_b
	.p2align	8
	.type	_ZN9rocsparseL18bsrsv_upper_sharedILj128ELj64ELi16ELb0EdEEviNS_24const_host_device_scalarIT3_EEPKiS5_PKS2_iS7_PS2_PiS9_S9_21rocsparse_index_base_20rocsparse_diag_type_20rocsparse_direction_b,@function
_ZN9rocsparseL18bsrsv_upper_sharedILj128ELj64ELi16ELb0EdEEviNS_24const_host_device_scalarIT3_EEPKiS5_PKS2_iS7_PS2_PiS9_S9_21rocsparse_index_base_20rocsparse_diag_type_20rocsparse_direction_b: ; @_ZN9rocsparseL18bsrsv_upper_sharedILj128ELj64ELi16ELb0EdEEviNS_24const_host_device_scalarIT3_EEPKiS5_PKS2_iS7_PS2_PiS9_S9_21rocsparse_index_base_20rocsparse_diag_type_20rocsparse_direction_b
; %bb.0:
	s_load_dwordx4 s[8:11], s[4:5], 0x58
	s_load_dwordx2 s[0:1], s[4:5], 0x8
	s_waitcnt lgkmcnt(0)
	s_bitcmp1_b32 s11, 0
	s_cselect_b64 s[2:3], -1, 0
	v_mov_b32_e32 v6, s1
	s_and_b64 vcc, exec, s[2:3]
	v_mov_b32_e32 v5, s0
	s_cbranch_vccnz .LBB33_2
; %bb.1:
	v_mov_b32_e32 v2, s1
	v_mov_b32_e32 v1, s0
	flat_load_dwordx2 v[5:6], v[1:2]
.LBB33_2:
	s_load_dword s7, s[4:5], 0x0
	s_lshl_b32 s0, s6, 1
	v_lshrrev_b32_e32 v14, 6, v0
	s_and_b32 s0, s0, 0x3fffffe
	v_or_b32_e32 v1, s0, v14
	s_waitcnt lgkmcnt(0)
	v_cmp_gt_i32_e32 vcc, s7, v1
	s_and_saveexec_b64 s[0:1], vcc
	s_cbranch_execz .LBB33_31
; %bb.3:
	s_load_dwordx2 s[0:1], s[4:5], 0x48
	s_load_dwordx4 s[12:15], s[4:5], 0x38
	v_lshlrev_b32_e32 v1, 2, v1
	v_mov_b32_e32 v9, 0
	v_mov_b32_e32 v10, 0
	s_waitcnt lgkmcnt(0)
	global_load_dword v1, v1, s[0:1]
	s_load_dwordx2 s[0:1], s[4:5], 0x10
	s_load_dword s33, s[4:5], 0x28
	s_waitcnt lgkmcnt(0)
	v_mov_b32_e32 v4, s1
	s_waitcnt vmcnt(0)
	v_ashrrev_i32_e32 v2, 31, v1
	v_lshlrev_b64 v[2:3], 2, v[1:2]
	v_add_co_u32_e32 v7, vcc, s0, v2
	v_addc_co_u32_e32 v8, vcc, v4, v3, vcc
	global_load_dwordx2 v[7:8], v[7:8], off
	v_and_b32_e32 v4, 63, v0
	v_cmp_gt_i32_e64 s[0:1], s33, v4
	s_and_saveexec_b64 s[2:3], s[0:1]
	s_cbranch_execz .LBB33_5
; %bb.4:
	v_mad_u64_u32 v[9:10], s[16:17], v1, s33, v[4:5]
	s_load_dwordx2 s[16:17], s[4:5], 0x30
	v_ashrrev_i32_e32 v10, 31, v9
	v_lshlrev_b64 v[9:10], 3, v[9:10]
	s_waitcnt lgkmcnt(0)
	v_mov_b32_e32 v11, s17
	v_add_co_u32_e32 v9, vcc, s16, v9
	v_addc_co_u32_e32 v10, vcc, v11, v10, vcc
	global_load_dwordx2 v[9:10], v[9:10], off
.LBB33_5:
	s_or_b64 exec, exec, s[2:3]
	s_waitcnt vmcnt(0)
	v_mul_f64 v[5:6], v[5:6], v[9:10]
	s_load_dwordx2 s[20:21], s[4:5], 0x50
	v_subrev_u32_e32 v13, s8, v7
	v_xad_u32 v7, s8, -1, v8
	v_lshlrev_b32_e32 v11, 11, v14
	v_cmp_ge_i32_e32 vcc, v7, v13
	v_mov_b32_e32 v8, s7
	v_lshlrev_b32_e32 v12, 3, v4
	s_and_saveexec_b64 s[22:23], vcc
	s_cbranch_execz .LBB33_28
; %bb.6:
	v_mov_b32_e32 v8, 0x1000
	v_and_b32_e32 v0, 15, v0
	s_load_dwordx4 s[16:19], s[4:5], 0x18
	v_lshl_or_b32 v14, v14, 7, v8
	v_mad_u64_u32 v[8:9], s[4:5], s33, v7, v[0:1]
	v_lshrrev_b32_e32 v15, 4, v4
	s_cmp_lg_u32 s10, 0
	v_mul_lo_u32 v17, s33, v8
	v_lshlrev_b32_e32 v8, 7, v15
	v_lshlrev_b32_e32 v9, 3, v0
	v_cmp_gt_i32_e64 s[2:3], s33, v0
	s_cselect_b64 s[10:11], -1, 0
	v_cmp_gt_u32_e64 s[4:5], 16, v4
	v_add_u32_e32 v16, v11, v12
	s_mul_i32 s34, s33, s33
	v_add3_u32 v18, v11, v8, v9
	s_mov_b64 s[24:25], 0
	s_waitcnt lgkmcnt(0)
	v_mov_b32_e32 v19, s17
	s_branch .LBB33_9
.LBB33_7:                               ;   in Loop: Header=BB33_9 Depth=1
	s_or_b64 exec, exec, s[6:7]
.LBB33_8:                               ;   in Loop: Header=BB33_9 Depth=1
	s_or_b64 exec, exec, s[26:27]
	v_cmp_le_i32_e64 s[6:7], v7, v13
	s_xor_b64 s[26:27], vcc, -1
	s_or_b64 s[6:7], s[26:27], s[6:7]
	v_add_u32_e32 v9, -1, v7
	s_and_b64 s[6:7], exec, s[6:7]
	v_subrev_u32_e32 v17, s34, v17
	s_or_b64 s[24:25], s[6:7], s[24:25]
	v_mov_b32_e32 v7, v9
	s_andn2_b64 exec, exec, s[24:25]
	s_cbranch_execz .LBB33_27
.LBB33_9:                               ; =>This Loop Header: Depth=1
                                        ;     Child Loop BB33_12 Depth 2
                                        ;     Child Loop BB33_20 Depth 2
	v_ashrrev_i32_e32 v8, 31, v7
	v_lshlrev_b64 v[8:9], 2, v[7:8]
	v_mul_lo_u32 v20, v7, s33
	v_add_co_u32_e32 v8, vcc, s16, v8
	v_addc_co_u32_e32 v9, vcc, v19, v9, vcc
	global_load_dword v10, v[8:9], off
	s_mov_b64 s[6:7], 0
	v_mov_b32_e32 v21, v18
	v_mov_b32_e32 v22, v15
	s_branch .LBB33_12
.LBB33_10:                              ;   in Loop: Header=BB33_12 Depth=2
	v_ashrrev_i32_e32 v9, 31, v8
	v_lshlrev_b64 v[8:9], 3, v[8:9]
	v_mov_b32_e32 v23, s19
	v_add_co_u32_e32 v8, vcc, s18, v8
	v_addc_co_u32_e32 v9, vcc, v23, v9, vcc
	global_load_dwordx2 v[8:9], v[8:9], off
.LBB33_11:                              ;   in Loop: Header=BB33_12 Depth=2
	s_or_b64 exec, exec, s[26:27]
	s_waitcnt vmcnt(0)
	ds_write_b64 v21, v[8:9]
	v_add_u32_e32 v8, 4, v22
	v_cmp_lt_u32_e32 vcc, 11, v22
	v_add_u32_e32 v21, 0x200, v21
	s_or_b64 s[6:7], vcc, s[6:7]
	v_mov_b32_e32 v22, v8
	s_andn2_b64 exec, exec, s[6:7]
	s_cbranch_execz .LBB33_17
.LBB33_12:                              ;   Parent Loop BB33_9 Depth=1
                                        ; =>  This Inner Loop Header: Depth=2
	v_cmp_gt_i32_e32 vcc, s33, v22
	v_mov_b32_e32 v8, 0
	v_mov_b32_e32 v9, 0
	s_and_b64 s[28:29], s[2:3], vcc
	s_and_saveexec_b64 s[26:27], s[28:29]
	s_cbranch_execz .LBB33_11
; %bb.13:                               ;   in Loop: Header=BB33_12 Depth=2
	s_and_b64 vcc, exec, s[10:11]
	s_cbranch_vccz .LBB33_15
; %bb.14:                               ;   in Loop: Header=BB33_12 Depth=2
	v_add_u32_e32 v8, v22, v20
	v_mad_u64_u32 v[8:9], s[28:29], v8, s33, v[0:1]
	s_cbranch_execnz .LBB33_10
	s_branch .LBB33_16
.LBB33_15:                              ;   in Loop: Header=BB33_12 Depth=2
                                        ; implicit-def: $vgpr8
.LBB33_16:                              ;   in Loop: Header=BB33_12 Depth=2
	v_add_u32_e32 v8, v17, v22
	s_branch .LBB33_10
.LBB33_17:                              ;   in Loop: Header=BB33_9 Depth=1
	s_or_b64 exec, exec, s[6:7]
	v_subrev_u32_e32 v8, s8, v10
	v_cmp_gt_i32_e32 vcc, v8, v1
	s_and_saveexec_b64 s[26:27], vcc
	s_cbranch_execz .LBB33_8
; %bb.18:                               ;   in Loop: Header=BB33_9 Depth=1
	v_ashrrev_i32_e32 v9, 31, v8
	v_lshlrev_b64 v[9:10], 2, v[8:9]
	v_mov_b32_e32 v20, s15
	v_add_co_u32_e64 v9, s[6:7], s14, v9
	v_addc_co_u32_e64 v10, s[6:7], v20, v10, s[6:7]
	global_load_dword v20, v[9:10], off glc
	s_waitcnt vmcnt(0)
	v_cmp_eq_u32_e64 s[6:7], 0, v20
	s_and_saveexec_b64 s[28:29], s[6:7]
	s_cbranch_execz .LBB33_21
; %bb.19:                               ;   in Loop: Header=BB33_9 Depth=1
	s_mov_b64 s[30:31], 0
.LBB33_20:                              ;   Parent Loop BB33_9 Depth=1
                                        ; =>  This Inner Loop Header: Depth=2
	global_load_dword v20, v[9:10], off glc
	s_waitcnt vmcnt(0)
	v_cmp_ne_u32_e64 s[6:7], 0, v20
	s_or_b64 s[30:31], s[6:7], s[30:31]
	s_andn2_b64 exec, exec, s[30:31]
	s_cbranch_execnz .LBB33_20
.LBB33_21:                              ;   in Loop: Header=BB33_9 Depth=1
	s_or_b64 exec, exec, s[28:29]
	s_waitcnt lgkmcnt(0)
	buffer_wbinvl1_vol
	s_and_saveexec_b64 s[28:29], s[4:5]
	s_cbranch_execz .LBB33_25
; %bb.22:                               ;   in Loop: Header=BB33_9 Depth=1
	v_mov_b32_e32 v9, 0
	v_mov_b32_e32 v10, 0
	s_and_saveexec_b64 s[30:31], s[0:1]
	s_cbranch_execz .LBB33_24
; %bb.23:                               ;   in Loop: Header=BB33_9 Depth=1
	v_mad_u64_u32 v[9:10], s[6:7], v8, s33, v[4:5]
	v_mov_b32_e32 v20, s13
	v_ashrrev_i32_e32 v10, 31, v9
	v_lshlrev_b64 v[9:10], 3, v[9:10]
	v_add_co_u32_e64 v9, s[6:7], s12, v9
	v_addc_co_u32_e64 v10, s[6:7], v20, v10, s[6:7]
	global_load_dwordx2 v[9:10], v[9:10], off
.LBB33_24:                              ;   in Loop: Header=BB33_9 Depth=1
	s_or_b64 exec, exec, s[30:31]
	v_add_u32_e32 v20, v14, v12
	s_waitcnt vmcnt(0)
	ds_write_b64 v20, v[9:10]
.LBB33_25:                              ;   in Loop: Header=BB33_9 Depth=1
	s_or_b64 exec, exec, s[28:29]
	s_waitcnt lgkmcnt(0)
	s_and_saveexec_b64 s[6:7], s[0:1]
	s_cbranch_execz .LBB33_7
; %bb.26:                               ;   in Loop: Header=BB33_9 Depth=1
	ds_read2_b64 v[20:23], v16 offset1:16
	ds_read_b128 v[24:27], v14
	ds_read_b128 v[28:31], v14 offset:16
	s_waitcnt lgkmcnt(1)
	v_fma_f64 v[5:6], -v[20:21], v[24:25], v[5:6]
	v_fma_f64 v[5:6], -v[22:23], v[26:27], v[5:6]
	ds_read2_b64 v[20:23], v16 offset0:32 offset1:48
	s_waitcnt lgkmcnt(0)
	v_fma_f64 v[5:6], -v[20:21], v[28:29], v[5:6]
	v_fma_f64 v[5:6], -v[22:23], v[30:31], v[5:6]
	ds_read2_b64 v[20:23], v16 offset0:64 offset1:80
	ds_read_b128 v[24:27], v14 offset:32
	ds_read_b128 v[28:31], v14 offset:48
	s_waitcnt lgkmcnt(1)
	v_fma_f64 v[5:6], -v[20:21], v[24:25], v[5:6]
	v_fma_f64 v[5:6], -v[22:23], v[26:27], v[5:6]
	ds_read2_b64 v[20:23], v16 offset0:96 offset1:112
	s_waitcnt lgkmcnt(0)
	v_fma_f64 v[5:6], -v[20:21], v[28:29], v[5:6]
	v_fma_f64 v[5:6], -v[22:23], v[30:31], v[5:6]
	ds_read2_b64 v[20:23], v16 offset0:128 offset1:144
	ds_read_b128 v[24:27], v14 offset:64
	;; [unrolled: 10-line block ×3, first 2 shown]
	ds_read_b128 v[28:31], v14 offset:112
	s_waitcnt lgkmcnt(1)
	v_fma_f64 v[5:6], -v[20:21], v[24:25], v[5:6]
	v_fma_f64 v[5:6], -v[22:23], v[26:27], v[5:6]
	ds_read2_b64 v[20:23], v16 offset0:224 offset1:240
	s_waitcnt lgkmcnt(0)
	v_fma_f64 v[5:6], -v[20:21], v[28:29], v[5:6]
	v_fma_f64 v[5:6], -v[22:23], v[30:31], v[5:6]
	s_branch .LBB33_7
.LBB33_27:
	s_or_b64 exec, exec, s[24:25]
.LBB33_28:
	s_or_b64 exec, exec, s[22:23]
	s_cmp_gt_i32 s33, 0
	v_cmp_eq_u32_e32 vcc, v8, v1
	s_cselect_b64 s[2:3], -1, 0
	s_and_b64 s[4:5], s[2:3], vcc
	s_mov_b64 s[2:3], 0
	s_and_saveexec_b64 s[6:7], s[4:5]
	s_cbranch_execnz .LBB33_32
; %bb.29:
	s_or_b64 exec, exec, s[6:7]
	s_and_saveexec_b64 s[4:5], s[0:1]
	s_cbranch_execnz .LBB33_43
.LBB33_30:
	s_or_b64 exec, exec, s[4:5]
	v_cmp_eq_u32_e32 vcc, 0, v4
	s_and_b64 exec, exec, vcc
	s_cbranch_execnz .LBB33_44
.LBB33_31:
	s_endpgm
.LBB33_32:
	v_lshl_add_u32 v7, s33, 7, v11
	s_movk_i32 s4, 0xff80
	s_cmp_eq_u32 s9, 0
	v_add3_u32 v12, v7, v12, s4
	s_mul_i32 s4, s33, 0x88
	s_cselect_b64 s[2:3], -1, 0
	v_mbcnt_lo_u32_b32 v0, -1, 0
	v_add_u32_e32 v7, s4, v11
	v_mbcnt_hi_u32_b32 v0, -1, v0
	v_add_u32_e32 v11, 0xffffff78, v7
	v_cndmask_b32_e64 v7, 0, 1, s[2:3]
	v_and_b32_e32 v0, 64, v0
	s_add_i32 s9, s33, -1
	s_mov_b64 s[10:11], 0
	v_cmp_ne_u32_e64 s[2:3], 1, v7
	v_mov_b32_e32 v7, 0
	v_mov_b32_e32 v8, 0x3ff00000
	s_and_b64 vcc, exec, s[2:3]
	s_cbranch_vccnz .LBB33_34
.LBB33_33:
	ds_read_b64 v[7:8], v11
.LBB33_34:                              ; =>This Inner Loop Header: Depth=1
	s_waitcnt lgkmcnt(0)
	v_cmp_eq_f64_e64 s[4:5], 0, v[7:8]
	v_and_or_b32 v9, s9, 63, v0
	v_lshlrev_b32_e32 v10, 2, v9
	ds_bpermute_b32 v9, v10, v5
	ds_bpermute_b32 v10, v10, v6
	s_and_saveexec_b64 s[16:17], s[0:1]
	s_cbranch_execz .LBB33_40
; %bb.35:                               ;   in Loop: Header=BB33_34 Depth=1
	s_waitcnt lgkmcnt(0)
	v_div_scale_f64 v[13:14], s[18:19], v[7:8], v[7:8], v[9:10]
	v_rcp_f64_e32 v[15:16], v[13:14]
	v_fma_f64 v[17:18], -v[13:14], v[15:16], 1.0
	v_fma_f64 v[15:16], v[15:16], v[17:18], v[15:16]
	v_div_scale_f64 v[17:18], vcc, v[9:10], v[7:8], v[9:10]
	v_fma_f64 v[19:20], -v[13:14], v[15:16], 1.0
	v_fma_f64 v[15:16], v[15:16], v[19:20], v[15:16]
	v_mul_f64 v[19:20], v[17:18], v[15:16]
	v_fma_f64 v[13:14], -v[13:14], v[19:20], v[17:18]
	v_div_fmas_f64 v[13:14], v[13:14], v[15:16], v[19:20]
	v_cmp_le_i32_e32 vcc, s9, v4
	v_div_fixup_f64 v[7:8], v[13:14], v[7:8], v[9:10]
	v_cndmask_b32_e64 v8, v8, v10, s[4:5]
	v_cndmask_b32_e64 v7, v7, v9, s[4:5]
	s_and_saveexec_b64 s[18:19], vcc
	s_xor_b64 s[18:19], exec, s[18:19]
; %bb.36:                               ;   in Loop: Header=BB33_34 Depth=1
	v_cmp_eq_u32_e32 vcc, s9, v4
	v_cndmask_b32_e32 v6, v6, v8, vcc
	v_cndmask_b32_e32 v5, v5, v7, vcc
                                        ; implicit-def: $vgpr7_vgpr8
; %bb.37:                               ;   in Loop: Header=BB33_34 Depth=1
	s_andn2_saveexec_b64 s[18:19], s[18:19]
	s_cbranch_execz .LBB33_39
; %bb.38:                               ;   in Loop: Header=BB33_34 Depth=1
	ds_read_b64 v[9:10], v12
	s_waitcnt lgkmcnt(0)
	v_fma_f64 v[5:6], -v[7:8], v[9:10], v[5:6]
.LBB33_39:                              ;   in Loop: Header=BB33_34 Depth=1
	s_or_b64 exec, exec, s[18:19]
.LBB33_40:                              ;   in Loop: Header=BB33_34 Depth=1
	s_or_b64 exec, exec, s[16:17]
	s_or_b64 s[10:11], s[4:5], s[10:11]
	s_add_i32 s4, s9, -1
	s_add_i32 s5, s9, 1
	v_add_u32_e32 v12, 0xffffff80, v12
	s_cmp_gt_u32 s5, 1
	v_add_u32_e32 v11, 0xffffff78, v11
	s_cbranch_scc0 .LBB33_42
; %bb.41:                               ;   in Loop: Header=BB33_34 Depth=1
	s_mov_b32 s9, s4
	v_mov_b32_e32 v7, 0
	v_mov_b32_e32 v8, 0x3ff00000
	s_and_b64 vcc, exec, s[2:3]
	s_cbranch_vccnz .LBB33_34
	s_branch .LBB33_33
.LBB33_42:
	s_and_b64 s[2:3], s[10:11], exec
	s_or_b64 exec, exec, s[6:7]
	s_and_saveexec_b64 s[4:5], s[0:1]
	s_cbranch_execz .LBB33_30
.LBB33_43:
	v_mad_u64_u32 v[7:8], s[0:1], v1, s33, v[4:5]
	v_mov_b32_e32 v0, s13
	v_ashrrev_i32_e32 v8, 31, v7
	v_lshlrev_b64 v[7:8], 3, v[7:8]
	v_add_co_u32_e32 v7, vcc, s12, v7
	v_addc_co_u32_e32 v8, vcc, v0, v8, vcc
	global_store_dwordx2 v[7:8], v[5:6], off
	s_or_b64 exec, exec, s[4:5]
	v_cmp_eq_u32_e32 vcc, 0, v4
	s_and_b64 exec, exec, vcc
	s_cbranch_execz .LBB33_31
.LBB33_44:
	v_mov_b32_e32 v0, s15
	v_add_co_u32_e32 v2, vcc, s14, v2
	v_addc_co_u32_e32 v3, vcc, v0, v3, vcc
	v_mov_b32_e32 v0, 1
	s_waitcnt vmcnt(0) lgkmcnt(0)
	global_store_dword v[2:3], v0, off
	s_and_b64 exec, exec, s[2:3]
	s_cbranch_execz .LBB33_31
; %bb.45:
	s_mov_b64 s[0:1], exec
	v_add_u32_e32 v0, s8, v1
	s_brev_b32 s2, -2
.LBB33_46:                              ; =>This Inner Loop Header: Depth=1
	s_ff1_i32_b64 s3, s[0:1]
	v_readlane_b32 s6, v0, s3
	s_lshl_b64 s[4:5], 1, s3
	s_min_i32 s2, s2, s6
	s_andn2_b64 s[0:1], s[0:1], s[4:5]
	s_cmp_lg_u64 s[0:1], 0
	s_cbranch_scc1 .LBB33_46
; %bb.47:
	v_mbcnt_lo_u32_b32 v0, exec_lo, 0
	v_mbcnt_hi_u32_b32 v0, exec_hi, v0
	v_cmp_eq_u32_e32 vcc, 0, v0
	s_and_saveexec_b64 s[0:1], vcc
	s_xor_b64 s[0:1], exec, s[0:1]
	s_cbranch_execz .LBB33_31
; %bb.48:
	v_mov_b32_e32 v0, 0
	v_mov_b32_e32 v1, s2
	global_atomic_smin v0, v1, s[20:21]
	s_endpgm
	.section	.rodata,"a",@progbits
	.p2align	6, 0x0
	.amdhsa_kernel _ZN9rocsparseL18bsrsv_upper_sharedILj128ELj64ELi16ELb0EdEEviNS_24const_host_device_scalarIT3_EEPKiS5_PKS2_iS7_PS2_PiS9_S9_21rocsparse_index_base_20rocsparse_diag_type_20rocsparse_direction_b
		.amdhsa_group_segment_fixed_size 4352
		.amdhsa_private_segment_fixed_size 0
		.amdhsa_kernarg_size 104
		.amdhsa_user_sgpr_count 6
		.amdhsa_user_sgpr_private_segment_buffer 1
		.amdhsa_user_sgpr_dispatch_ptr 0
		.amdhsa_user_sgpr_queue_ptr 0
		.amdhsa_user_sgpr_kernarg_segment_ptr 1
		.amdhsa_user_sgpr_dispatch_id 0
		.amdhsa_user_sgpr_flat_scratch_init 0
		.amdhsa_user_sgpr_private_segment_size 0
		.amdhsa_uses_dynamic_stack 0
		.amdhsa_system_sgpr_private_segment_wavefront_offset 0
		.amdhsa_system_sgpr_workgroup_id_x 1
		.amdhsa_system_sgpr_workgroup_id_y 0
		.amdhsa_system_sgpr_workgroup_id_z 0
		.amdhsa_system_sgpr_workgroup_info 0
		.amdhsa_system_vgpr_workitem_id 0
		.amdhsa_next_free_vgpr 32
		.amdhsa_next_free_sgpr 61
		.amdhsa_reserve_vcc 1
		.amdhsa_reserve_flat_scratch 0
		.amdhsa_float_round_mode_32 0
		.amdhsa_float_round_mode_16_64 0
		.amdhsa_float_denorm_mode_32 3
		.amdhsa_float_denorm_mode_16_64 3
		.amdhsa_dx10_clamp 1
		.amdhsa_ieee_mode 1
		.amdhsa_fp16_overflow 0
		.amdhsa_exception_fp_ieee_invalid_op 0
		.amdhsa_exception_fp_denorm_src 0
		.amdhsa_exception_fp_ieee_div_zero 0
		.amdhsa_exception_fp_ieee_overflow 0
		.amdhsa_exception_fp_ieee_underflow 0
		.amdhsa_exception_fp_ieee_inexact 0
		.amdhsa_exception_int_div_zero 0
	.end_amdhsa_kernel
	.section	.text._ZN9rocsparseL18bsrsv_upper_sharedILj128ELj64ELi16ELb0EdEEviNS_24const_host_device_scalarIT3_EEPKiS5_PKS2_iS7_PS2_PiS9_S9_21rocsparse_index_base_20rocsparse_diag_type_20rocsparse_direction_b,"axG",@progbits,_ZN9rocsparseL18bsrsv_upper_sharedILj128ELj64ELi16ELb0EdEEviNS_24const_host_device_scalarIT3_EEPKiS5_PKS2_iS7_PS2_PiS9_S9_21rocsparse_index_base_20rocsparse_diag_type_20rocsparse_direction_b,comdat
.Lfunc_end33:
	.size	_ZN9rocsparseL18bsrsv_upper_sharedILj128ELj64ELi16ELb0EdEEviNS_24const_host_device_scalarIT3_EEPKiS5_PKS2_iS7_PS2_PiS9_S9_21rocsparse_index_base_20rocsparse_diag_type_20rocsparse_direction_b, .Lfunc_end33-_ZN9rocsparseL18bsrsv_upper_sharedILj128ELj64ELi16ELb0EdEEviNS_24const_host_device_scalarIT3_EEPKiS5_PKS2_iS7_PS2_PiS9_S9_21rocsparse_index_base_20rocsparse_diag_type_20rocsparse_direction_b
                                        ; -- End function
	.set _ZN9rocsparseL18bsrsv_upper_sharedILj128ELj64ELi16ELb0EdEEviNS_24const_host_device_scalarIT3_EEPKiS5_PKS2_iS7_PS2_PiS9_S9_21rocsparse_index_base_20rocsparse_diag_type_20rocsparse_direction_b.num_vgpr, 32
	.set _ZN9rocsparseL18bsrsv_upper_sharedILj128ELj64ELi16ELb0EdEEviNS_24const_host_device_scalarIT3_EEPKiS5_PKS2_iS7_PS2_PiS9_S9_21rocsparse_index_base_20rocsparse_diag_type_20rocsparse_direction_b.num_agpr, 0
	.set _ZN9rocsparseL18bsrsv_upper_sharedILj128ELj64ELi16ELb0EdEEviNS_24const_host_device_scalarIT3_EEPKiS5_PKS2_iS7_PS2_PiS9_S9_21rocsparse_index_base_20rocsparse_diag_type_20rocsparse_direction_b.numbered_sgpr, 35
	.set _ZN9rocsparseL18bsrsv_upper_sharedILj128ELj64ELi16ELb0EdEEviNS_24const_host_device_scalarIT3_EEPKiS5_PKS2_iS7_PS2_PiS9_S9_21rocsparse_index_base_20rocsparse_diag_type_20rocsparse_direction_b.num_named_barrier, 0
	.set _ZN9rocsparseL18bsrsv_upper_sharedILj128ELj64ELi16ELb0EdEEviNS_24const_host_device_scalarIT3_EEPKiS5_PKS2_iS7_PS2_PiS9_S9_21rocsparse_index_base_20rocsparse_diag_type_20rocsparse_direction_b.private_seg_size, 0
	.set _ZN9rocsparseL18bsrsv_upper_sharedILj128ELj64ELi16ELb0EdEEviNS_24const_host_device_scalarIT3_EEPKiS5_PKS2_iS7_PS2_PiS9_S9_21rocsparse_index_base_20rocsparse_diag_type_20rocsparse_direction_b.uses_vcc, 1
	.set _ZN9rocsparseL18bsrsv_upper_sharedILj128ELj64ELi16ELb0EdEEviNS_24const_host_device_scalarIT3_EEPKiS5_PKS2_iS7_PS2_PiS9_S9_21rocsparse_index_base_20rocsparse_diag_type_20rocsparse_direction_b.uses_flat_scratch, 0
	.set _ZN9rocsparseL18bsrsv_upper_sharedILj128ELj64ELi16ELb0EdEEviNS_24const_host_device_scalarIT3_EEPKiS5_PKS2_iS7_PS2_PiS9_S9_21rocsparse_index_base_20rocsparse_diag_type_20rocsparse_direction_b.has_dyn_sized_stack, 0
	.set _ZN9rocsparseL18bsrsv_upper_sharedILj128ELj64ELi16ELb0EdEEviNS_24const_host_device_scalarIT3_EEPKiS5_PKS2_iS7_PS2_PiS9_S9_21rocsparse_index_base_20rocsparse_diag_type_20rocsparse_direction_b.has_recursion, 0
	.set _ZN9rocsparseL18bsrsv_upper_sharedILj128ELj64ELi16ELb0EdEEviNS_24const_host_device_scalarIT3_EEPKiS5_PKS2_iS7_PS2_PiS9_S9_21rocsparse_index_base_20rocsparse_diag_type_20rocsparse_direction_b.has_indirect_call, 0
	.section	.AMDGPU.csdata,"",@progbits
; Kernel info:
; codeLenInByte = 1888
; TotalNumSgprs: 39
; NumVgprs: 32
; ScratchSize: 0
; MemoryBound: 0
; FloatMode: 240
; IeeeMode: 1
; LDSByteSize: 4352 bytes/workgroup (compile time only)
; SGPRBlocks: 8
; VGPRBlocks: 7
; NumSGPRsForWavesPerEU: 65
; NumVGPRsForWavesPerEU: 32
; Occupancy: 8
; WaveLimiterHint : 1
; COMPUTE_PGM_RSRC2:SCRATCH_EN: 0
; COMPUTE_PGM_RSRC2:USER_SGPR: 6
; COMPUTE_PGM_RSRC2:TRAP_HANDLER: 0
; COMPUTE_PGM_RSRC2:TGID_X_EN: 1
; COMPUTE_PGM_RSRC2:TGID_Y_EN: 0
; COMPUTE_PGM_RSRC2:TGID_Z_EN: 0
; COMPUTE_PGM_RSRC2:TIDIG_COMP_CNT: 0
	.section	.text._ZN9rocsparseL18bsrsv_lower_sharedILj128ELj64ELi32ELb1EdEEviNS_24const_host_device_scalarIT3_EEPKiS5_PKS2_iS7_PS2_PiS9_S9_21rocsparse_index_base_20rocsparse_diag_type_20rocsparse_direction_b,"axG",@progbits,_ZN9rocsparseL18bsrsv_lower_sharedILj128ELj64ELi32ELb1EdEEviNS_24const_host_device_scalarIT3_EEPKiS5_PKS2_iS7_PS2_PiS9_S9_21rocsparse_index_base_20rocsparse_diag_type_20rocsparse_direction_b,comdat
	.globl	_ZN9rocsparseL18bsrsv_lower_sharedILj128ELj64ELi32ELb1EdEEviNS_24const_host_device_scalarIT3_EEPKiS5_PKS2_iS7_PS2_PiS9_S9_21rocsparse_index_base_20rocsparse_diag_type_20rocsparse_direction_b ; -- Begin function _ZN9rocsparseL18bsrsv_lower_sharedILj128ELj64ELi32ELb1EdEEviNS_24const_host_device_scalarIT3_EEPKiS5_PKS2_iS7_PS2_PiS9_S9_21rocsparse_index_base_20rocsparse_diag_type_20rocsparse_direction_b
	.p2align	8
	.type	_ZN9rocsparseL18bsrsv_lower_sharedILj128ELj64ELi32ELb1EdEEviNS_24const_host_device_scalarIT3_EEPKiS5_PKS2_iS7_PS2_PiS9_S9_21rocsparse_index_base_20rocsparse_diag_type_20rocsparse_direction_b,@function
_ZN9rocsparseL18bsrsv_lower_sharedILj128ELj64ELi32ELb1EdEEviNS_24const_host_device_scalarIT3_EEPKiS5_PKS2_iS7_PS2_PiS9_S9_21rocsparse_index_base_20rocsparse_diag_type_20rocsparse_direction_b: ; @_ZN9rocsparseL18bsrsv_lower_sharedILj128ELj64ELi32ELb1EdEEviNS_24const_host_device_scalarIT3_EEPKiS5_PKS2_iS7_PS2_PiS9_S9_21rocsparse_index_base_20rocsparse_diag_type_20rocsparse_direction_b
; %bb.0:
	s_load_dwordx4 s[8:11], s[4:5], 0x58
	s_load_dwordx2 s[0:1], s[4:5], 0x8
	s_waitcnt lgkmcnt(0)
	s_bitcmp1_b32 s11, 0
	s_cselect_b64 s[2:3], -1, 0
	v_mov_b32_e32 v6, s1
	s_and_b64 vcc, exec, s[2:3]
	v_mov_b32_e32 v5, s0
	s_cbranch_vccnz .LBB34_2
; %bb.1:
	v_mov_b32_e32 v2, s1
	v_mov_b32_e32 v1, s0
	flat_load_dwordx2 v[5:6], v[1:2]
.LBB34_2:
	s_load_dword s7, s[4:5], 0x0
	s_lshl_b32 s0, s6, 1
	v_lshrrev_b32_e32 v12, 6, v0
	s_and_b32 s0, s0, 0x3fffffe
	v_or_b32_e32 v1, s0, v12
	s_waitcnt lgkmcnt(0)
	v_cmp_gt_i32_e32 vcc, s7, v1
	s_and_saveexec_b64 s[0:1], vcc
	s_cbranch_execz .LBB34_33
; %bb.3:
	s_load_dwordx2 s[0:1], s[4:5], 0x48
	s_load_dwordx4 s[12:15], s[4:5], 0x38
	v_lshlrev_b32_e32 v1, 2, v1
	s_waitcnt lgkmcnt(0)
	global_load_dword v1, v1, s[0:1]
	s_load_dwordx2 s[0:1], s[4:5], 0x10
	s_load_dword s33, s[4:5], 0x28
	s_waitcnt lgkmcnt(0)
	v_mov_b32_e32 v4, s1
	s_waitcnt vmcnt(0)
	v_ashrrev_i32_e32 v2, 31, v1
	v_lshlrev_b64 v[2:3], 2, v[1:2]
	v_add_co_u32_e32 v7, vcc, s0, v2
	v_addc_co_u32_e32 v8, vcc, v4, v3, vcc
	global_load_dwordx2 v[9:10], v[7:8], off
	v_and_b32_e32 v4, 63, v0
	v_mov_b32_e32 v7, 0
	v_mov_b32_e32 v8, 0
	v_cmp_gt_i32_e64 s[0:1], s33, v4
	s_and_saveexec_b64 s[2:3], s[0:1]
	s_cbranch_execz .LBB34_5
; %bb.4:
	v_mad_u64_u32 v[7:8], s[16:17], v1, s33, v[4:5]
	s_load_dwordx2 s[16:17], s[4:5], 0x30
	v_ashrrev_i32_e32 v8, 31, v7
	v_lshlrev_b64 v[7:8], 3, v[7:8]
	s_waitcnt lgkmcnt(0)
	v_mov_b32_e32 v11, s17
	v_add_co_u32_e32 v7, vcc, s16, v7
	v_addc_co_u32_e32 v8, vcc, v11, v8, vcc
	global_load_dwordx2 v[7:8], v[7:8], off
.LBB34_5:
	s_or_b64 exec, exec, s[2:3]
	s_waitcnt vmcnt(0)
	v_mul_f64 v[5:6], v[5:6], v[7:8]
	s_load_dwordx2 s[20:21], s[4:5], 0x50
	v_lshlrev_b32_e32 v11, 13, v12
	v_cmp_lt_i32_e32 vcc, v9, v10
	v_mov_b32_e32 v8, s7
	s_and_saveexec_b64 s[22:23], vcc
	s_cbranch_execz .LBB34_30
; %bb.6:
	v_mov_b32_e32 v7, 0x4000
	v_lshl_or_b32 v12, v12, 8, v7
	v_subrev_u32_e32 v7, s8, v9
	v_and_b32_e32 v0, 31, v0
	v_mad_u64_u32 v[8:9], s[6:7], s33, v7, v[0:1]
	s_load_dwordx4 s[16:19], s[4:5], 0x18
	v_lshrrev_b32_e32 v14, 5, v4
	v_mul_lo_u32 v17, s33, v8
	v_lshlrev_b32_e32 v9, 3, v4
	s_cmp_lg_u32 s10, 0
	v_add_u32_e32 v15, v12, v9
	v_add_u32_e32 v16, v11, v9
	v_lshlrev_b32_e32 v8, 8, v14
	v_lshlrev_b32_e32 v9, 3, v0
	v_subrev_u32_e32 v13, s8, v10
	v_cmp_gt_i32_e64 s[2:3], s33, v0
	s_cselect_b64 s[10:11], -1, 0
	v_cmp_gt_u32_e64 s[4:5], 32, v4
	s_mul_i32 s34, s33, s33
	v_add3_u32 v18, v11, v8, v9
	s_mov_b64 s[24:25], 0
	s_waitcnt lgkmcnt(0)
	v_mov_b32_e32 v19, s17
	v_add_u32_e32 v20, 0x800, v16
	v_add_u32_e32 v21, 0x1000, v16
	;; [unrolled: 1-line block ×3, first 2 shown]
	s_branch .LBB34_9
.LBB34_7:                               ;   in Loop: Header=BB34_9 Depth=1
	s_or_b64 exec, exec, s[6:7]
.LBB34_8:                               ;   in Loop: Header=BB34_9 Depth=1
	s_or_b64 exec, exec, s[26:27]
	v_add_u32_e32 v7, 1, v7
	v_cmp_ge_i32_e64 s[6:7], v7, v13
	s_xor_b64 s[26:27], vcc, -1
	s_or_b64 s[6:7], s[26:27], s[6:7]
	s_and_b64 s[6:7], exec, s[6:7]
	s_or_b64 s[24:25], s[6:7], s[24:25]
	v_add_u32_e32 v17, s34, v17
	s_andn2_b64 exec, exec, s[24:25]
	s_cbranch_execz .LBB34_29
.LBB34_9:                               ; =>This Loop Header: Depth=1
                                        ;     Child Loop BB34_12 Depth 2
                                        ;     Child Loop BB34_21 Depth 2
                                        ;       Child Loop BB34_22 Depth 3
	v_ashrrev_i32_e32 v8, 31, v7
	v_lshlrev_b64 v[8:9], 2, v[7:8]
	v_mul_lo_u32 v23, v7, s33
	v_add_co_u32_e32 v8, vcc, s16, v8
	v_addc_co_u32_e32 v9, vcc, v19, v9, vcc
	global_load_dword v10, v[8:9], off
	s_mov_b64 s[6:7], 0
	v_mov_b32_e32 v24, v18
	v_mov_b32_e32 v25, v14
	s_branch .LBB34_12
.LBB34_10:                              ;   in Loop: Header=BB34_12 Depth=2
	v_ashrrev_i32_e32 v9, 31, v8
	v_lshlrev_b64 v[8:9], 3, v[8:9]
	v_mov_b32_e32 v26, s19
	v_add_co_u32_e32 v8, vcc, s18, v8
	v_addc_co_u32_e32 v9, vcc, v26, v9, vcc
	global_load_dwordx2 v[8:9], v[8:9], off
.LBB34_11:                              ;   in Loop: Header=BB34_12 Depth=2
	s_or_b64 exec, exec, s[26:27]
	s_waitcnt vmcnt(0)
	ds_write_b64 v24, v[8:9]
	v_add_u32_e32 v8, 2, v25
	v_cmp_lt_u32_e32 vcc, 29, v25
	v_add_u32_e32 v24, 0x200, v24
	s_or_b64 s[6:7], vcc, s[6:7]
	v_mov_b32_e32 v25, v8
	s_andn2_b64 exec, exec, s[6:7]
	s_cbranch_execz .LBB34_17
.LBB34_12:                              ;   Parent Loop BB34_9 Depth=1
                                        ; =>  This Inner Loop Header: Depth=2
	v_cmp_gt_i32_e32 vcc, s33, v25
	v_mov_b32_e32 v8, 0
	v_mov_b32_e32 v9, 0
	s_and_b64 s[28:29], s[2:3], vcc
	s_and_saveexec_b64 s[26:27], s[28:29]
	s_cbranch_execz .LBB34_11
; %bb.13:                               ;   in Loop: Header=BB34_12 Depth=2
	s_and_b64 vcc, exec, s[10:11]
	s_cbranch_vccz .LBB34_15
; %bb.14:                               ;   in Loop: Header=BB34_12 Depth=2
	v_add_u32_e32 v8, v25, v23
	v_mad_u64_u32 v[8:9], s[28:29], v8, s33, v[0:1]
	s_cbranch_execnz .LBB34_10
	s_branch .LBB34_16
.LBB34_15:                              ;   in Loop: Header=BB34_12 Depth=2
                                        ; implicit-def: $vgpr8
.LBB34_16:                              ;   in Loop: Header=BB34_12 Depth=2
	v_add_u32_e32 v8, v17, v25
	s_branch .LBB34_10
.LBB34_17:                              ;   in Loop: Header=BB34_9 Depth=1
	s_or_b64 exec, exec, s[6:7]
	v_subrev_u32_e32 v8, s8, v10
	v_cmp_lt_i32_e32 vcc, v8, v1
	s_and_saveexec_b64 s[26:27], vcc
	s_cbranch_execz .LBB34_8
; %bb.18:                               ;   in Loop: Header=BB34_9 Depth=1
	v_ashrrev_i32_e32 v9, 31, v8
	v_lshlrev_b64 v[9:10], 2, v[8:9]
	v_mov_b32_e32 v23, s15
	v_add_co_u32_e64 v9, s[6:7], s14, v9
	v_addc_co_u32_e64 v10, s[6:7], v23, v10, s[6:7]
	global_load_dword v23, v[9:10], off glc
	s_waitcnt vmcnt(0)
	v_cmp_eq_u32_e64 s[6:7], 0, v23
	s_and_saveexec_b64 s[28:29], s[6:7]
	s_cbranch_execz .LBB34_23
; %bb.19:                               ;   in Loop: Header=BB34_9 Depth=1
	s_mov_b32 s17, 0
	s_mov_b64 s[30:31], 0
	s_branch .LBB34_21
.LBB34_20:                              ;   in Loop: Header=BB34_21 Depth=2
	global_load_dword v23, v[9:10], off glc
	s_cmpk_lt_u32 s17, 0xf43
	s_cselect_b64 s[6:7], -1, 0
	s_cmp_lg_u64 s[6:7], 0
	s_addc_u32 s17, s17, 0
	s_waitcnt vmcnt(0)
	v_cmp_ne_u32_e64 s[6:7], 0, v23
	s_or_b64 s[30:31], s[6:7], s[30:31]
	s_andn2_b64 exec, exec, s[30:31]
	s_cbranch_execz .LBB34_23
.LBB34_21:                              ;   Parent Loop BB34_9 Depth=1
                                        ; =>  This Loop Header: Depth=2
                                        ;       Child Loop BB34_22 Depth 3
	s_cmp_eq_u32 s17, 0
	s_mov_b32 s6, s17
	s_cbranch_scc1 .LBB34_20
.LBB34_22:                              ;   Parent Loop BB34_9 Depth=1
                                        ;     Parent Loop BB34_21 Depth=2
                                        ; =>    This Inner Loop Header: Depth=3
	s_add_i32 s6, s6, -1
	s_cmp_eq_u32 s6, 0
	s_sleep 1
	s_cbranch_scc0 .LBB34_22
	s_branch .LBB34_20
.LBB34_23:                              ;   in Loop: Header=BB34_9 Depth=1
	s_or_b64 exec, exec, s[28:29]
	s_waitcnt lgkmcnt(0)
	buffer_wbinvl1_vol
	s_and_saveexec_b64 s[28:29], s[4:5]
	s_cbranch_execz .LBB34_27
; %bb.24:                               ;   in Loop: Header=BB34_9 Depth=1
	v_mov_b32_e32 v9, 0
	v_mov_b32_e32 v10, 0
	s_and_saveexec_b64 s[30:31], s[0:1]
	s_cbranch_execz .LBB34_26
; %bb.25:                               ;   in Loop: Header=BB34_9 Depth=1
	v_mad_u64_u32 v[9:10], s[6:7], v8, s33, v[4:5]
	v_mov_b32_e32 v23, s13
	v_ashrrev_i32_e32 v10, 31, v9
	v_lshlrev_b64 v[9:10], 3, v[9:10]
	v_add_co_u32_e64 v9, s[6:7], s12, v9
	v_addc_co_u32_e64 v10, s[6:7], v23, v10, s[6:7]
	global_load_dwordx2 v[9:10], v[9:10], off
.LBB34_26:                              ;   in Loop: Header=BB34_9 Depth=1
	s_or_b64 exec, exec, s[30:31]
	s_waitcnt vmcnt(0)
	ds_write_b64 v15, v[9:10]
.LBB34_27:                              ;   in Loop: Header=BB34_9 Depth=1
	s_or_b64 exec, exec, s[28:29]
	s_waitcnt lgkmcnt(0)
	s_and_saveexec_b64 s[6:7], s[0:1]
	s_cbranch_execz .LBB34_7
; %bb.28:                               ;   in Loop: Header=BB34_9 Depth=1
	ds_read2_b64 v[23:26], v16 offset1:32
	ds_read_b128 v[27:30], v12
	ds_read_b128 v[31:34], v12 offset:16
	s_waitcnt lgkmcnt(1)
	v_fma_f64 v[5:6], -v[23:24], v[27:28], v[5:6]
	v_fma_f64 v[5:6], -v[25:26], v[29:30], v[5:6]
	ds_read2_b64 v[23:26], v16 offset0:64 offset1:96
	s_waitcnt lgkmcnt(0)
	v_fma_f64 v[5:6], -v[23:24], v[31:32], v[5:6]
	v_fma_f64 v[5:6], -v[25:26], v[33:34], v[5:6]
	ds_read2_b64 v[23:26], v16 offset0:128 offset1:160
	ds_read_b128 v[27:30], v12 offset:32
	ds_read_b128 v[31:34], v12 offset:48
	s_waitcnt lgkmcnt(1)
	v_fma_f64 v[5:6], -v[23:24], v[27:28], v[5:6]
	v_fma_f64 v[5:6], -v[25:26], v[29:30], v[5:6]
	ds_read2_b64 v[23:26], v16 offset0:192 offset1:224
	s_waitcnt lgkmcnt(0)
	v_fma_f64 v[5:6], -v[23:24], v[31:32], v[5:6]
	v_fma_f64 v[5:6], -v[25:26], v[33:34], v[5:6]
	ds_read2_b64 v[23:26], v20 offset1:32
	ds_read_b128 v[27:30], v12 offset:64
	ds_read_b128 v[31:34], v12 offset:80
	s_waitcnt lgkmcnt(1)
	v_fma_f64 v[5:6], -v[23:24], v[27:28], v[5:6]
	v_fma_f64 v[5:6], -v[25:26], v[29:30], v[5:6]
	ds_read2_b64 v[23:26], v20 offset0:64 offset1:96
	s_waitcnt lgkmcnt(0)
	v_fma_f64 v[5:6], -v[23:24], v[31:32], v[5:6]
	v_fma_f64 v[5:6], -v[25:26], v[33:34], v[5:6]
	ds_read2_b64 v[23:26], v20 offset0:128 offset1:160
	ds_read_b128 v[27:30], v12 offset:96
	ds_read_b128 v[31:34], v12 offset:112
	s_waitcnt lgkmcnt(1)
	v_fma_f64 v[5:6], -v[23:24], v[27:28], v[5:6]
	v_fma_f64 v[5:6], -v[25:26], v[29:30], v[5:6]
	ds_read2_b64 v[23:26], v20 offset0:192 offset1:224
	s_waitcnt lgkmcnt(0)
	v_fma_f64 v[5:6], -v[23:24], v[31:32], v[5:6]
	v_fma_f64 v[5:6], -v[25:26], v[33:34], v[5:6]
	ds_read2_b64 v[23:26], v21 offset1:32
	ds_read_b128 v[27:30], v12 offset:128
	ds_read_b128 v[31:34], v12 offset:144
	s_waitcnt lgkmcnt(1)
	v_fma_f64 v[5:6], -v[23:24], v[27:28], v[5:6]
	v_fma_f64 v[5:6], -v[25:26], v[29:30], v[5:6]
	ds_read2_b64 v[23:26], v21 offset0:64 offset1:96
	s_waitcnt lgkmcnt(0)
	v_fma_f64 v[5:6], -v[23:24], v[31:32], v[5:6]
	v_fma_f64 v[5:6], -v[25:26], v[33:34], v[5:6]
	ds_read2_b64 v[23:26], v21 offset0:128 offset1:160
	ds_read_b128 v[27:30], v12 offset:160
	ds_read_b128 v[31:34], v12 offset:176
	s_waitcnt lgkmcnt(1)
	v_fma_f64 v[5:6], -v[23:24], v[27:28], v[5:6]
	v_fma_f64 v[5:6], -v[25:26], v[29:30], v[5:6]
	ds_read2_b64 v[23:26], v21 offset0:192 offset1:224
	s_waitcnt lgkmcnt(0)
	v_fma_f64 v[5:6], -v[23:24], v[31:32], v[5:6]
	v_fma_f64 v[5:6], -v[25:26], v[33:34], v[5:6]
	ds_read2_b64 v[23:26], v22 offset1:32
	ds_read_b128 v[27:30], v12 offset:192
	ds_read_b128 v[31:34], v12 offset:208
	s_waitcnt lgkmcnt(1)
	v_fma_f64 v[5:6], -v[23:24], v[27:28], v[5:6]
	v_fma_f64 v[5:6], -v[25:26], v[29:30], v[5:6]
	ds_read2_b64 v[23:26], v22 offset0:64 offset1:96
	s_waitcnt lgkmcnt(0)
	v_fma_f64 v[5:6], -v[23:24], v[31:32], v[5:6]
	v_fma_f64 v[5:6], -v[25:26], v[33:34], v[5:6]
	ds_read2_b64 v[23:26], v22 offset0:128 offset1:160
	ds_read_b128 v[27:30], v12 offset:224
	ds_read_b128 v[31:34], v12 offset:240
	s_waitcnt lgkmcnt(1)
	v_fma_f64 v[5:6], -v[23:24], v[27:28], v[5:6]
	v_fma_f64 v[5:6], -v[25:26], v[29:30], v[5:6]
	ds_read2_b64 v[23:26], v22 offset0:192 offset1:224
	s_waitcnt lgkmcnt(0)
	v_fma_f64 v[5:6], -v[23:24], v[31:32], v[5:6]
	v_fma_f64 v[5:6], -v[25:26], v[33:34], v[5:6]
	s_branch .LBB34_7
.LBB34_29:
	s_or_b64 exec, exec, s[24:25]
.LBB34_30:
	s_or_b64 exec, exec, s[22:23]
	s_cmp_gt_i32 s33, 0
	v_cmp_eq_u32_e32 vcc, v8, v1
	s_cselect_b64 s[2:3], -1, 0
	s_mov_b32 s22, 0
	s_and_b64 s[4:5], s[2:3], vcc
	s_mov_b64 s[2:3], 0
	s_and_saveexec_b64 s[6:7], s[4:5]
	s_cbranch_execnz .LBB34_34
; %bb.31:
	s_or_b64 exec, exec, s[6:7]
	s_and_saveexec_b64 s[4:5], s[0:1]
	s_cbranch_execnz .LBB34_45
.LBB34_32:
	s_or_b64 exec, exec, s[4:5]
	v_cmp_eq_u32_e32 vcc, 0, v4
	s_and_b64 exec, exec, vcc
	s_cbranch_execnz .LBB34_46
.LBB34_33:
	s_endpgm
.LBB34_34:
	s_cmp_eq_u32 s9, 0
	v_mbcnt_lo_u32_b32 v0, -1, 0
	s_cselect_b64 s[2:3], -1, 0
	v_mbcnt_hi_u32_b32 v0, -1, v0
	v_cndmask_b32_e64 v7, 0, 1, s[2:3]
	v_and_b32_e32 v0, 64, v0
	v_lshl_add_u32 v12, v4, 3, v11
	s_mov_b64 s[10:11], 0
	v_cmp_ne_u32_e64 s[2:3], 1, v7
	s_branch .LBB34_37
.LBB34_35:                              ;   in Loop: Header=BB34_37 Depth=1
	s_or_b64 exec, exec, s[18:19]
.LBB34_36:                              ;   in Loop: Header=BB34_37 Depth=1
	s_or_b64 exec, exec, s[16:17]
	s_or_b64 s[10:11], s[4:5], s[10:11]
	s_add_i32 s22, s22, 1
	v_add_u32_e32 v12, 0x100, v12
	s_cmp_lg_u32 s33, s22
	v_add_u32_e32 v11, 0x108, v11
	s_cbranch_scc0 .LBB34_44
.LBB34_37:                              ; =>This Inner Loop Header: Depth=1
	v_mov_b32_e32 v7, 0
	v_mov_b32_e32 v8, 0x3ff00000
	s_and_b64 vcc, exec, s[2:3]
	s_cbranch_vccnz .LBB34_39
; %bb.38:                               ;   in Loop: Header=BB34_37 Depth=1
	ds_read_b64 v[7:8], v11
.LBB34_39:                              ;   in Loop: Header=BB34_37 Depth=1
	s_waitcnt lgkmcnt(0)
	v_cmp_eq_f64_e64 s[4:5], 0, v[7:8]
	v_and_or_b32 v9, s22, 63, v0
	v_lshlrev_b32_e32 v10, 2, v9
	ds_bpermute_b32 v9, v10, v5
	ds_bpermute_b32 v10, v10, v6
	s_and_saveexec_b64 s[16:17], s[0:1]
	s_cbranch_execz .LBB34_36
; %bb.40:                               ;   in Loop: Header=BB34_37 Depth=1
	s_waitcnt lgkmcnt(0)
	v_div_scale_f64 v[13:14], s[18:19], v[7:8], v[7:8], v[9:10]
	v_rcp_f64_e32 v[15:16], v[13:14]
	v_fma_f64 v[17:18], -v[13:14], v[15:16], 1.0
	v_fma_f64 v[15:16], v[15:16], v[17:18], v[15:16]
	v_div_scale_f64 v[17:18], vcc, v[9:10], v[7:8], v[9:10]
	v_fma_f64 v[19:20], -v[13:14], v[15:16], 1.0
	v_fma_f64 v[15:16], v[15:16], v[19:20], v[15:16]
	v_mul_f64 v[19:20], v[17:18], v[15:16]
	v_fma_f64 v[13:14], -v[13:14], v[19:20], v[17:18]
	v_div_fmas_f64 v[13:14], v[13:14], v[15:16], v[19:20]
	v_cmp_ge_u32_e32 vcc, s22, v4
	v_div_fixup_f64 v[7:8], v[13:14], v[7:8], v[9:10]
	v_cndmask_b32_e64 v8, v8, v10, s[4:5]
	v_cndmask_b32_e64 v7, v7, v9, s[4:5]
	s_and_saveexec_b64 s[18:19], vcc
	s_xor_b64 s[18:19], exec, s[18:19]
; %bb.41:                               ;   in Loop: Header=BB34_37 Depth=1
	v_cmp_eq_u32_e32 vcc, s22, v4
	v_cndmask_b32_e32 v6, v6, v8, vcc
	v_cndmask_b32_e32 v5, v5, v7, vcc
                                        ; implicit-def: $vgpr7_vgpr8
; %bb.42:                               ;   in Loop: Header=BB34_37 Depth=1
	s_andn2_saveexec_b64 s[18:19], s[18:19]
	s_cbranch_execz .LBB34_35
; %bb.43:                               ;   in Loop: Header=BB34_37 Depth=1
	ds_read_b64 v[9:10], v12
	s_waitcnt lgkmcnt(0)
	v_fma_f64 v[5:6], -v[7:8], v[9:10], v[5:6]
	s_branch .LBB34_35
.LBB34_44:
	s_and_b64 s[2:3], s[10:11], exec
	s_or_b64 exec, exec, s[6:7]
	s_and_saveexec_b64 s[4:5], s[0:1]
	s_cbranch_execz .LBB34_32
.LBB34_45:
	v_mad_u64_u32 v[7:8], s[0:1], v1, s33, v[4:5]
	v_mov_b32_e32 v0, s13
	v_ashrrev_i32_e32 v8, 31, v7
	v_lshlrev_b64 v[7:8], 3, v[7:8]
	v_add_co_u32_e32 v7, vcc, s12, v7
	v_addc_co_u32_e32 v8, vcc, v0, v8, vcc
	global_store_dwordx2 v[7:8], v[5:6], off
	s_or_b64 exec, exec, s[4:5]
	v_cmp_eq_u32_e32 vcc, 0, v4
	s_and_b64 exec, exec, vcc
	s_cbranch_execz .LBB34_33
.LBB34_46:
	v_mov_b32_e32 v0, s15
	v_add_co_u32_e32 v2, vcc, s14, v2
	v_addc_co_u32_e32 v3, vcc, v0, v3, vcc
	v_mov_b32_e32 v0, 1
	s_waitcnt vmcnt(0) lgkmcnt(0)
	global_store_dword v[2:3], v0, off
	s_and_b64 exec, exec, s[2:3]
	s_cbranch_execz .LBB34_33
; %bb.47:
	s_mov_b64 s[0:1], exec
	v_add_u32_e32 v0, s8, v1
	s_brev_b32 s2, -2
.LBB34_48:                              ; =>This Inner Loop Header: Depth=1
	s_ff1_i32_b64 s3, s[0:1]
	v_readlane_b32 s6, v0, s3
	s_lshl_b64 s[4:5], 1, s3
	s_min_i32 s2, s2, s6
	s_andn2_b64 s[0:1], s[0:1], s[4:5]
	s_cmp_lg_u64 s[0:1], 0
	s_cbranch_scc1 .LBB34_48
; %bb.49:
	v_mbcnt_lo_u32_b32 v0, exec_lo, 0
	v_mbcnt_hi_u32_b32 v0, exec_hi, v0
	v_cmp_eq_u32_e32 vcc, 0, v0
	s_and_saveexec_b64 s[0:1], vcc
	s_xor_b64 s[0:1], exec, s[0:1]
	s_cbranch_execz .LBB34_33
; %bb.50:
	v_mov_b32_e32 v0, 0
	v_mov_b32_e32 v1, s2
	global_atomic_smin v0, v1, s[20:21]
	s_endpgm
	.section	.rodata,"a",@progbits
	.p2align	6, 0x0
	.amdhsa_kernel _ZN9rocsparseL18bsrsv_lower_sharedILj128ELj64ELi32ELb1EdEEviNS_24const_host_device_scalarIT3_EEPKiS5_PKS2_iS7_PS2_PiS9_S9_21rocsparse_index_base_20rocsparse_diag_type_20rocsparse_direction_b
		.amdhsa_group_segment_fixed_size 16896
		.amdhsa_private_segment_fixed_size 0
		.amdhsa_kernarg_size 104
		.amdhsa_user_sgpr_count 6
		.amdhsa_user_sgpr_private_segment_buffer 1
		.amdhsa_user_sgpr_dispatch_ptr 0
		.amdhsa_user_sgpr_queue_ptr 0
		.amdhsa_user_sgpr_kernarg_segment_ptr 1
		.amdhsa_user_sgpr_dispatch_id 0
		.amdhsa_user_sgpr_flat_scratch_init 0
		.amdhsa_user_sgpr_private_segment_size 0
		.amdhsa_uses_dynamic_stack 0
		.amdhsa_system_sgpr_private_segment_wavefront_offset 0
		.amdhsa_system_sgpr_workgroup_id_x 1
		.amdhsa_system_sgpr_workgroup_id_y 0
		.amdhsa_system_sgpr_workgroup_id_z 0
		.amdhsa_system_sgpr_workgroup_info 0
		.amdhsa_system_vgpr_workitem_id 0
		.amdhsa_next_free_vgpr 85
		.amdhsa_next_free_sgpr 98
		.amdhsa_reserve_vcc 1
		.amdhsa_reserve_flat_scratch 0
		.amdhsa_float_round_mode_32 0
		.amdhsa_float_round_mode_16_64 0
		.amdhsa_float_denorm_mode_32 3
		.amdhsa_float_denorm_mode_16_64 3
		.amdhsa_dx10_clamp 1
		.amdhsa_ieee_mode 1
		.amdhsa_fp16_overflow 0
		.amdhsa_exception_fp_ieee_invalid_op 0
		.amdhsa_exception_fp_denorm_src 0
		.amdhsa_exception_fp_ieee_div_zero 0
		.amdhsa_exception_fp_ieee_overflow 0
		.amdhsa_exception_fp_ieee_underflow 0
		.amdhsa_exception_fp_ieee_inexact 0
		.amdhsa_exception_int_div_zero 0
	.end_amdhsa_kernel
	.section	.text._ZN9rocsparseL18bsrsv_lower_sharedILj128ELj64ELi32ELb1EdEEviNS_24const_host_device_scalarIT3_EEPKiS5_PKS2_iS7_PS2_PiS9_S9_21rocsparse_index_base_20rocsparse_diag_type_20rocsparse_direction_b,"axG",@progbits,_ZN9rocsparseL18bsrsv_lower_sharedILj128ELj64ELi32ELb1EdEEviNS_24const_host_device_scalarIT3_EEPKiS5_PKS2_iS7_PS2_PiS9_S9_21rocsparse_index_base_20rocsparse_diag_type_20rocsparse_direction_b,comdat
.Lfunc_end34:
	.size	_ZN9rocsparseL18bsrsv_lower_sharedILj128ELj64ELi32ELb1EdEEviNS_24const_host_device_scalarIT3_EEPKiS5_PKS2_iS7_PS2_PiS9_S9_21rocsparse_index_base_20rocsparse_diag_type_20rocsparse_direction_b, .Lfunc_end34-_ZN9rocsparseL18bsrsv_lower_sharedILj128ELj64ELi32ELb1EdEEviNS_24const_host_device_scalarIT3_EEPKiS5_PKS2_iS7_PS2_PiS9_S9_21rocsparse_index_base_20rocsparse_diag_type_20rocsparse_direction_b
                                        ; -- End function
	.set _ZN9rocsparseL18bsrsv_lower_sharedILj128ELj64ELi32ELb1EdEEviNS_24const_host_device_scalarIT3_EEPKiS5_PKS2_iS7_PS2_PiS9_S9_21rocsparse_index_base_20rocsparse_diag_type_20rocsparse_direction_b.num_vgpr, 35
	.set _ZN9rocsparseL18bsrsv_lower_sharedILj128ELj64ELi32ELb1EdEEviNS_24const_host_device_scalarIT3_EEPKiS5_PKS2_iS7_PS2_PiS9_S9_21rocsparse_index_base_20rocsparse_diag_type_20rocsparse_direction_b.num_agpr, 0
	.set _ZN9rocsparseL18bsrsv_lower_sharedILj128ELj64ELi32ELb1EdEEviNS_24const_host_device_scalarIT3_EEPKiS5_PKS2_iS7_PS2_PiS9_S9_21rocsparse_index_base_20rocsparse_diag_type_20rocsparse_direction_b.numbered_sgpr, 35
	.set _ZN9rocsparseL18bsrsv_lower_sharedILj128ELj64ELi32ELb1EdEEviNS_24const_host_device_scalarIT3_EEPKiS5_PKS2_iS7_PS2_PiS9_S9_21rocsparse_index_base_20rocsparse_diag_type_20rocsparse_direction_b.num_named_barrier, 0
	.set _ZN9rocsparseL18bsrsv_lower_sharedILj128ELj64ELi32ELb1EdEEviNS_24const_host_device_scalarIT3_EEPKiS5_PKS2_iS7_PS2_PiS9_S9_21rocsparse_index_base_20rocsparse_diag_type_20rocsparse_direction_b.private_seg_size, 0
	.set _ZN9rocsparseL18bsrsv_lower_sharedILj128ELj64ELi32ELb1EdEEviNS_24const_host_device_scalarIT3_EEPKiS5_PKS2_iS7_PS2_PiS9_S9_21rocsparse_index_base_20rocsparse_diag_type_20rocsparse_direction_b.uses_vcc, 1
	.set _ZN9rocsparseL18bsrsv_lower_sharedILj128ELj64ELi32ELb1EdEEviNS_24const_host_device_scalarIT3_EEPKiS5_PKS2_iS7_PS2_PiS9_S9_21rocsparse_index_base_20rocsparse_diag_type_20rocsparse_direction_b.uses_flat_scratch, 0
	.set _ZN9rocsparseL18bsrsv_lower_sharedILj128ELj64ELi32ELb1EdEEviNS_24const_host_device_scalarIT3_EEPKiS5_PKS2_iS7_PS2_PiS9_S9_21rocsparse_index_base_20rocsparse_diag_type_20rocsparse_direction_b.has_dyn_sized_stack, 0
	.set _ZN9rocsparseL18bsrsv_lower_sharedILj128ELj64ELi32ELb1EdEEviNS_24const_host_device_scalarIT3_EEPKiS5_PKS2_iS7_PS2_PiS9_S9_21rocsparse_index_base_20rocsparse_diag_type_20rocsparse_direction_b.has_recursion, 0
	.set _ZN9rocsparseL18bsrsv_lower_sharedILj128ELj64ELi32ELb1EdEEviNS_24const_host_device_scalarIT3_EEPKiS5_PKS2_iS7_PS2_PiS9_S9_21rocsparse_index_base_20rocsparse_diag_type_20rocsparse_direction_b.has_indirect_call, 0
	.section	.AMDGPU.csdata,"",@progbits
; Kernel info:
; codeLenInByte = 2192
; TotalNumSgprs: 39
; NumVgprs: 35
; ScratchSize: 0
; MemoryBound: 0
; FloatMode: 240
; IeeeMode: 1
; LDSByteSize: 16896 bytes/workgroup (compile time only)
; SGPRBlocks: 12
; VGPRBlocks: 21
; NumSGPRsForWavesPerEU: 102
; NumVGPRsForWavesPerEU: 85
; Occupancy: 2
; WaveLimiterHint : 1
; COMPUTE_PGM_RSRC2:SCRATCH_EN: 0
; COMPUTE_PGM_RSRC2:USER_SGPR: 6
; COMPUTE_PGM_RSRC2:TRAP_HANDLER: 0
; COMPUTE_PGM_RSRC2:TGID_X_EN: 1
; COMPUTE_PGM_RSRC2:TGID_Y_EN: 0
; COMPUTE_PGM_RSRC2:TGID_Z_EN: 0
; COMPUTE_PGM_RSRC2:TIDIG_COMP_CNT: 0
	.section	.text._ZN9rocsparseL18bsrsv_lower_sharedILj128ELj64ELi32ELb0EdEEviNS_24const_host_device_scalarIT3_EEPKiS5_PKS2_iS7_PS2_PiS9_S9_21rocsparse_index_base_20rocsparse_diag_type_20rocsparse_direction_b,"axG",@progbits,_ZN9rocsparseL18bsrsv_lower_sharedILj128ELj64ELi32ELb0EdEEviNS_24const_host_device_scalarIT3_EEPKiS5_PKS2_iS7_PS2_PiS9_S9_21rocsparse_index_base_20rocsparse_diag_type_20rocsparse_direction_b,comdat
	.globl	_ZN9rocsparseL18bsrsv_lower_sharedILj128ELj64ELi32ELb0EdEEviNS_24const_host_device_scalarIT3_EEPKiS5_PKS2_iS7_PS2_PiS9_S9_21rocsparse_index_base_20rocsparse_diag_type_20rocsparse_direction_b ; -- Begin function _ZN9rocsparseL18bsrsv_lower_sharedILj128ELj64ELi32ELb0EdEEviNS_24const_host_device_scalarIT3_EEPKiS5_PKS2_iS7_PS2_PiS9_S9_21rocsparse_index_base_20rocsparse_diag_type_20rocsparse_direction_b
	.p2align	8
	.type	_ZN9rocsparseL18bsrsv_lower_sharedILj128ELj64ELi32ELb0EdEEviNS_24const_host_device_scalarIT3_EEPKiS5_PKS2_iS7_PS2_PiS9_S9_21rocsparse_index_base_20rocsparse_diag_type_20rocsparse_direction_b,@function
_ZN9rocsparseL18bsrsv_lower_sharedILj128ELj64ELi32ELb0EdEEviNS_24const_host_device_scalarIT3_EEPKiS5_PKS2_iS7_PS2_PiS9_S9_21rocsparse_index_base_20rocsparse_diag_type_20rocsparse_direction_b: ; @_ZN9rocsparseL18bsrsv_lower_sharedILj128ELj64ELi32ELb0EdEEviNS_24const_host_device_scalarIT3_EEPKiS5_PKS2_iS7_PS2_PiS9_S9_21rocsparse_index_base_20rocsparse_diag_type_20rocsparse_direction_b
; %bb.0:
	s_load_dwordx4 s[8:11], s[4:5], 0x58
	s_load_dwordx2 s[0:1], s[4:5], 0x8
	s_waitcnt lgkmcnt(0)
	s_bitcmp1_b32 s11, 0
	s_cselect_b64 s[2:3], -1, 0
	v_mov_b32_e32 v6, s1
	s_and_b64 vcc, exec, s[2:3]
	v_mov_b32_e32 v5, s0
	s_cbranch_vccnz .LBB35_2
; %bb.1:
	v_mov_b32_e32 v2, s1
	v_mov_b32_e32 v1, s0
	flat_load_dwordx2 v[5:6], v[1:2]
.LBB35_2:
	s_load_dword s7, s[4:5], 0x0
	s_lshl_b32 s0, s6, 1
	v_lshrrev_b32_e32 v12, 6, v0
	s_and_b32 s0, s0, 0x3fffffe
	v_or_b32_e32 v1, s0, v12
	s_waitcnt lgkmcnt(0)
	v_cmp_gt_i32_e32 vcc, s7, v1
	s_and_saveexec_b64 s[0:1], vcc
	s_cbranch_execz .LBB35_31
; %bb.3:
	s_load_dwordx2 s[0:1], s[4:5], 0x48
	s_load_dwordx4 s[12:15], s[4:5], 0x38
	v_lshlrev_b32_e32 v1, 2, v1
	s_waitcnt lgkmcnt(0)
	global_load_dword v1, v1, s[0:1]
	s_load_dwordx2 s[0:1], s[4:5], 0x10
	s_load_dword s33, s[4:5], 0x28
	s_waitcnt lgkmcnt(0)
	v_mov_b32_e32 v4, s1
	s_waitcnt vmcnt(0)
	v_ashrrev_i32_e32 v2, 31, v1
	v_lshlrev_b64 v[2:3], 2, v[1:2]
	v_add_co_u32_e32 v7, vcc, s0, v2
	v_addc_co_u32_e32 v8, vcc, v4, v3, vcc
	global_load_dwordx2 v[9:10], v[7:8], off
	v_and_b32_e32 v4, 63, v0
	v_mov_b32_e32 v7, 0
	v_mov_b32_e32 v8, 0
	v_cmp_gt_i32_e64 s[0:1], s33, v4
	s_and_saveexec_b64 s[2:3], s[0:1]
	s_cbranch_execz .LBB35_5
; %bb.4:
	v_mad_u64_u32 v[7:8], s[16:17], v1, s33, v[4:5]
	s_load_dwordx2 s[16:17], s[4:5], 0x30
	v_ashrrev_i32_e32 v8, 31, v7
	v_lshlrev_b64 v[7:8], 3, v[7:8]
	s_waitcnt lgkmcnt(0)
	v_mov_b32_e32 v11, s17
	v_add_co_u32_e32 v7, vcc, s16, v7
	v_addc_co_u32_e32 v8, vcc, v11, v8, vcc
	global_load_dwordx2 v[7:8], v[7:8], off
.LBB35_5:
	s_or_b64 exec, exec, s[2:3]
	s_waitcnt vmcnt(0)
	v_mul_f64 v[5:6], v[5:6], v[7:8]
	s_load_dwordx2 s[20:21], s[4:5], 0x50
	v_lshlrev_b32_e32 v11, 13, v12
	v_cmp_lt_i32_e32 vcc, v9, v10
	v_mov_b32_e32 v8, s7
	s_and_saveexec_b64 s[22:23], vcc
	s_cbranch_execz .LBB35_28
; %bb.6:
	v_mov_b32_e32 v7, 0x4000
	v_lshl_or_b32 v12, v12, 8, v7
	v_subrev_u32_e32 v7, s8, v9
	v_and_b32_e32 v0, 31, v0
	v_mad_u64_u32 v[8:9], s[6:7], s33, v7, v[0:1]
	s_load_dwordx4 s[16:19], s[4:5], 0x18
	v_lshrrev_b32_e32 v14, 5, v4
	v_mul_lo_u32 v17, s33, v8
	v_lshlrev_b32_e32 v9, 3, v4
	s_cmp_lg_u32 s10, 0
	v_add_u32_e32 v15, v12, v9
	v_add_u32_e32 v16, v11, v9
	v_lshlrev_b32_e32 v8, 8, v14
	v_lshlrev_b32_e32 v9, 3, v0
	v_subrev_u32_e32 v13, s8, v10
	v_cmp_gt_i32_e64 s[2:3], s33, v0
	s_cselect_b64 s[10:11], -1, 0
	v_cmp_gt_u32_e64 s[4:5], 32, v4
	s_mul_i32 s34, s33, s33
	v_add3_u32 v18, v11, v8, v9
	s_mov_b64 s[24:25], 0
	s_waitcnt lgkmcnt(0)
	v_mov_b32_e32 v19, s17
	v_add_u32_e32 v20, 0x800, v16
	v_add_u32_e32 v21, 0x1000, v16
	;; [unrolled: 1-line block ×3, first 2 shown]
	s_branch .LBB35_9
.LBB35_7:                               ;   in Loop: Header=BB35_9 Depth=1
	s_or_b64 exec, exec, s[6:7]
.LBB35_8:                               ;   in Loop: Header=BB35_9 Depth=1
	s_or_b64 exec, exec, s[26:27]
	v_add_u32_e32 v7, 1, v7
	v_cmp_ge_i32_e64 s[6:7], v7, v13
	s_xor_b64 s[26:27], vcc, -1
	s_or_b64 s[6:7], s[26:27], s[6:7]
	s_and_b64 s[6:7], exec, s[6:7]
	s_or_b64 s[24:25], s[6:7], s[24:25]
	v_add_u32_e32 v17, s34, v17
	s_andn2_b64 exec, exec, s[24:25]
	s_cbranch_execz .LBB35_27
.LBB35_9:                               ; =>This Loop Header: Depth=1
                                        ;     Child Loop BB35_12 Depth 2
                                        ;     Child Loop BB35_20 Depth 2
	v_ashrrev_i32_e32 v8, 31, v7
	v_lshlrev_b64 v[8:9], 2, v[7:8]
	v_mul_lo_u32 v23, v7, s33
	v_add_co_u32_e32 v8, vcc, s16, v8
	v_addc_co_u32_e32 v9, vcc, v19, v9, vcc
	global_load_dword v10, v[8:9], off
	s_mov_b64 s[6:7], 0
	v_mov_b32_e32 v24, v18
	v_mov_b32_e32 v25, v14
	s_branch .LBB35_12
.LBB35_10:                              ;   in Loop: Header=BB35_12 Depth=2
	v_ashrrev_i32_e32 v9, 31, v8
	v_lshlrev_b64 v[8:9], 3, v[8:9]
	v_mov_b32_e32 v26, s19
	v_add_co_u32_e32 v8, vcc, s18, v8
	v_addc_co_u32_e32 v9, vcc, v26, v9, vcc
	global_load_dwordx2 v[8:9], v[8:9], off
.LBB35_11:                              ;   in Loop: Header=BB35_12 Depth=2
	s_or_b64 exec, exec, s[26:27]
	s_waitcnt vmcnt(0)
	ds_write_b64 v24, v[8:9]
	v_add_u32_e32 v8, 2, v25
	v_cmp_lt_u32_e32 vcc, 29, v25
	v_add_u32_e32 v24, 0x200, v24
	s_or_b64 s[6:7], vcc, s[6:7]
	v_mov_b32_e32 v25, v8
	s_andn2_b64 exec, exec, s[6:7]
	s_cbranch_execz .LBB35_17
.LBB35_12:                              ;   Parent Loop BB35_9 Depth=1
                                        ; =>  This Inner Loop Header: Depth=2
	v_cmp_gt_i32_e32 vcc, s33, v25
	v_mov_b32_e32 v8, 0
	v_mov_b32_e32 v9, 0
	s_and_b64 s[28:29], s[2:3], vcc
	s_and_saveexec_b64 s[26:27], s[28:29]
	s_cbranch_execz .LBB35_11
; %bb.13:                               ;   in Loop: Header=BB35_12 Depth=2
	s_and_b64 vcc, exec, s[10:11]
	s_cbranch_vccz .LBB35_15
; %bb.14:                               ;   in Loop: Header=BB35_12 Depth=2
	v_add_u32_e32 v8, v25, v23
	v_mad_u64_u32 v[8:9], s[28:29], v8, s33, v[0:1]
	s_cbranch_execnz .LBB35_10
	s_branch .LBB35_16
.LBB35_15:                              ;   in Loop: Header=BB35_12 Depth=2
                                        ; implicit-def: $vgpr8
.LBB35_16:                              ;   in Loop: Header=BB35_12 Depth=2
	v_add_u32_e32 v8, v17, v25
	s_branch .LBB35_10
.LBB35_17:                              ;   in Loop: Header=BB35_9 Depth=1
	s_or_b64 exec, exec, s[6:7]
	v_subrev_u32_e32 v8, s8, v10
	v_cmp_lt_i32_e32 vcc, v8, v1
	s_and_saveexec_b64 s[26:27], vcc
	s_cbranch_execz .LBB35_8
; %bb.18:                               ;   in Loop: Header=BB35_9 Depth=1
	v_ashrrev_i32_e32 v9, 31, v8
	v_lshlrev_b64 v[9:10], 2, v[8:9]
	v_mov_b32_e32 v23, s15
	v_add_co_u32_e64 v9, s[6:7], s14, v9
	v_addc_co_u32_e64 v10, s[6:7], v23, v10, s[6:7]
	global_load_dword v23, v[9:10], off glc
	s_waitcnt vmcnt(0)
	v_cmp_eq_u32_e64 s[6:7], 0, v23
	s_and_saveexec_b64 s[28:29], s[6:7]
	s_cbranch_execz .LBB35_21
; %bb.19:                               ;   in Loop: Header=BB35_9 Depth=1
	s_mov_b64 s[30:31], 0
.LBB35_20:                              ;   Parent Loop BB35_9 Depth=1
                                        ; =>  This Inner Loop Header: Depth=2
	global_load_dword v23, v[9:10], off glc
	s_waitcnt vmcnt(0)
	v_cmp_ne_u32_e64 s[6:7], 0, v23
	s_or_b64 s[30:31], s[6:7], s[30:31]
	s_andn2_b64 exec, exec, s[30:31]
	s_cbranch_execnz .LBB35_20
.LBB35_21:                              ;   in Loop: Header=BB35_9 Depth=1
	s_or_b64 exec, exec, s[28:29]
	s_waitcnt lgkmcnt(0)
	buffer_wbinvl1_vol
	s_and_saveexec_b64 s[28:29], s[4:5]
	s_cbranch_execz .LBB35_25
; %bb.22:                               ;   in Loop: Header=BB35_9 Depth=1
	v_mov_b32_e32 v9, 0
	v_mov_b32_e32 v10, 0
	s_and_saveexec_b64 s[30:31], s[0:1]
	s_cbranch_execz .LBB35_24
; %bb.23:                               ;   in Loop: Header=BB35_9 Depth=1
	v_mad_u64_u32 v[9:10], s[6:7], v8, s33, v[4:5]
	v_mov_b32_e32 v23, s13
	v_ashrrev_i32_e32 v10, 31, v9
	v_lshlrev_b64 v[9:10], 3, v[9:10]
	v_add_co_u32_e64 v9, s[6:7], s12, v9
	v_addc_co_u32_e64 v10, s[6:7], v23, v10, s[6:7]
	global_load_dwordx2 v[9:10], v[9:10], off
.LBB35_24:                              ;   in Loop: Header=BB35_9 Depth=1
	s_or_b64 exec, exec, s[30:31]
	s_waitcnt vmcnt(0)
	ds_write_b64 v15, v[9:10]
.LBB35_25:                              ;   in Loop: Header=BB35_9 Depth=1
	s_or_b64 exec, exec, s[28:29]
	s_waitcnt lgkmcnt(0)
	s_and_saveexec_b64 s[6:7], s[0:1]
	s_cbranch_execz .LBB35_7
; %bb.26:                               ;   in Loop: Header=BB35_9 Depth=1
	ds_read2_b64 v[23:26], v16 offset1:32
	ds_read_b128 v[27:30], v12
	ds_read_b128 v[31:34], v12 offset:16
	s_waitcnt lgkmcnt(1)
	v_fma_f64 v[5:6], -v[23:24], v[27:28], v[5:6]
	v_fma_f64 v[5:6], -v[25:26], v[29:30], v[5:6]
	ds_read2_b64 v[23:26], v16 offset0:64 offset1:96
	s_waitcnt lgkmcnt(0)
	v_fma_f64 v[5:6], -v[23:24], v[31:32], v[5:6]
	v_fma_f64 v[5:6], -v[25:26], v[33:34], v[5:6]
	ds_read2_b64 v[23:26], v16 offset0:128 offset1:160
	ds_read_b128 v[27:30], v12 offset:32
	ds_read_b128 v[31:34], v12 offset:48
	s_waitcnt lgkmcnt(1)
	v_fma_f64 v[5:6], -v[23:24], v[27:28], v[5:6]
	v_fma_f64 v[5:6], -v[25:26], v[29:30], v[5:6]
	ds_read2_b64 v[23:26], v16 offset0:192 offset1:224
	s_waitcnt lgkmcnt(0)
	v_fma_f64 v[5:6], -v[23:24], v[31:32], v[5:6]
	v_fma_f64 v[5:6], -v[25:26], v[33:34], v[5:6]
	ds_read2_b64 v[23:26], v20 offset1:32
	ds_read_b128 v[27:30], v12 offset:64
	ds_read_b128 v[31:34], v12 offset:80
	s_waitcnt lgkmcnt(1)
	v_fma_f64 v[5:6], -v[23:24], v[27:28], v[5:6]
	v_fma_f64 v[5:6], -v[25:26], v[29:30], v[5:6]
	ds_read2_b64 v[23:26], v20 offset0:64 offset1:96
	s_waitcnt lgkmcnt(0)
	v_fma_f64 v[5:6], -v[23:24], v[31:32], v[5:6]
	v_fma_f64 v[5:6], -v[25:26], v[33:34], v[5:6]
	ds_read2_b64 v[23:26], v20 offset0:128 offset1:160
	ds_read_b128 v[27:30], v12 offset:96
	ds_read_b128 v[31:34], v12 offset:112
	s_waitcnt lgkmcnt(1)
	v_fma_f64 v[5:6], -v[23:24], v[27:28], v[5:6]
	v_fma_f64 v[5:6], -v[25:26], v[29:30], v[5:6]
	ds_read2_b64 v[23:26], v20 offset0:192 offset1:224
	s_waitcnt lgkmcnt(0)
	v_fma_f64 v[5:6], -v[23:24], v[31:32], v[5:6]
	v_fma_f64 v[5:6], -v[25:26], v[33:34], v[5:6]
	ds_read2_b64 v[23:26], v21 offset1:32
	ds_read_b128 v[27:30], v12 offset:128
	;; [unrolled: 20-line block ×3, first 2 shown]
	ds_read_b128 v[31:34], v12 offset:208
	s_waitcnt lgkmcnt(1)
	v_fma_f64 v[5:6], -v[23:24], v[27:28], v[5:6]
	v_fma_f64 v[5:6], -v[25:26], v[29:30], v[5:6]
	ds_read2_b64 v[23:26], v22 offset0:64 offset1:96
	s_waitcnt lgkmcnt(0)
	v_fma_f64 v[5:6], -v[23:24], v[31:32], v[5:6]
	v_fma_f64 v[5:6], -v[25:26], v[33:34], v[5:6]
	ds_read2_b64 v[23:26], v22 offset0:128 offset1:160
	ds_read_b128 v[27:30], v12 offset:224
	ds_read_b128 v[31:34], v12 offset:240
	s_waitcnt lgkmcnt(1)
	v_fma_f64 v[5:6], -v[23:24], v[27:28], v[5:6]
	v_fma_f64 v[5:6], -v[25:26], v[29:30], v[5:6]
	ds_read2_b64 v[23:26], v22 offset0:192 offset1:224
	s_waitcnt lgkmcnt(0)
	v_fma_f64 v[5:6], -v[23:24], v[31:32], v[5:6]
	v_fma_f64 v[5:6], -v[25:26], v[33:34], v[5:6]
	s_branch .LBB35_7
.LBB35_27:
	s_or_b64 exec, exec, s[24:25]
.LBB35_28:
	s_or_b64 exec, exec, s[22:23]
	s_cmp_gt_i32 s33, 0
	v_cmp_eq_u32_e32 vcc, v8, v1
	s_cselect_b64 s[2:3], -1, 0
	s_mov_b32 s22, 0
	s_and_b64 s[4:5], s[2:3], vcc
	s_mov_b64 s[2:3], 0
	s_and_saveexec_b64 s[6:7], s[4:5]
	s_cbranch_execnz .LBB35_32
; %bb.29:
	s_or_b64 exec, exec, s[6:7]
	s_and_saveexec_b64 s[4:5], s[0:1]
	s_cbranch_execnz .LBB35_43
.LBB35_30:
	s_or_b64 exec, exec, s[4:5]
	v_cmp_eq_u32_e32 vcc, 0, v4
	s_and_b64 exec, exec, vcc
	s_cbranch_execnz .LBB35_44
.LBB35_31:
	s_endpgm
.LBB35_32:
	s_cmp_eq_u32 s9, 0
	v_mbcnt_lo_u32_b32 v0, -1, 0
	s_cselect_b64 s[2:3], -1, 0
	v_mbcnt_hi_u32_b32 v0, -1, v0
	v_cndmask_b32_e64 v7, 0, 1, s[2:3]
	v_and_b32_e32 v0, 64, v0
	v_lshl_add_u32 v12, v4, 3, v11
	s_mov_b64 s[10:11], 0
	v_cmp_ne_u32_e64 s[2:3], 1, v7
	s_branch .LBB35_35
.LBB35_33:                              ;   in Loop: Header=BB35_35 Depth=1
	s_or_b64 exec, exec, s[18:19]
.LBB35_34:                              ;   in Loop: Header=BB35_35 Depth=1
	s_or_b64 exec, exec, s[16:17]
	s_or_b64 s[10:11], s[4:5], s[10:11]
	s_add_i32 s22, s22, 1
	v_add_u32_e32 v12, 0x100, v12
	s_cmp_lg_u32 s33, s22
	v_add_u32_e32 v11, 0x108, v11
	s_cbranch_scc0 .LBB35_42
.LBB35_35:                              ; =>This Inner Loop Header: Depth=1
	v_mov_b32_e32 v7, 0
	v_mov_b32_e32 v8, 0x3ff00000
	s_and_b64 vcc, exec, s[2:3]
	s_cbranch_vccnz .LBB35_37
; %bb.36:                               ;   in Loop: Header=BB35_35 Depth=1
	ds_read_b64 v[7:8], v11
.LBB35_37:                              ;   in Loop: Header=BB35_35 Depth=1
	s_waitcnt lgkmcnt(0)
	v_cmp_eq_f64_e64 s[4:5], 0, v[7:8]
	v_and_or_b32 v9, s22, 63, v0
	v_lshlrev_b32_e32 v10, 2, v9
	ds_bpermute_b32 v9, v10, v5
	ds_bpermute_b32 v10, v10, v6
	s_and_saveexec_b64 s[16:17], s[0:1]
	s_cbranch_execz .LBB35_34
; %bb.38:                               ;   in Loop: Header=BB35_35 Depth=1
	s_waitcnt lgkmcnt(0)
	v_div_scale_f64 v[13:14], s[18:19], v[7:8], v[7:8], v[9:10]
	v_rcp_f64_e32 v[15:16], v[13:14]
	v_fma_f64 v[17:18], -v[13:14], v[15:16], 1.0
	v_fma_f64 v[15:16], v[15:16], v[17:18], v[15:16]
	v_div_scale_f64 v[17:18], vcc, v[9:10], v[7:8], v[9:10]
	v_fma_f64 v[19:20], -v[13:14], v[15:16], 1.0
	v_fma_f64 v[15:16], v[15:16], v[19:20], v[15:16]
	v_mul_f64 v[19:20], v[17:18], v[15:16]
	v_fma_f64 v[13:14], -v[13:14], v[19:20], v[17:18]
	v_div_fmas_f64 v[13:14], v[13:14], v[15:16], v[19:20]
	v_cmp_ge_u32_e32 vcc, s22, v4
	v_div_fixup_f64 v[7:8], v[13:14], v[7:8], v[9:10]
	v_cndmask_b32_e64 v8, v8, v10, s[4:5]
	v_cndmask_b32_e64 v7, v7, v9, s[4:5]
	s_and_saveexec_b64 s[18:19], vcc
	s_xor_b64 s[18:19], exec, s[18:19]
; %bb.39:                               ;   in Loop: Header=BB35_35 Depth=1
	v_cmp_eq_u32_e32 vcc, s22, v4
	v_cndmask_b32_e32 v6, v6, v8, vcc
	v_cndmask_b32_e32 v5, v5, v7, vcc
                                        ; implicit-def: $vgpr7_vgpr8
; %bb.40:                               ;   in Loop: Header=BB35_35 Depth=1
	s_andn2_saveexec_b64 s[18:19], s[18:19]
	s_cbranch_execz .LBB35_33
; %bb.41:                               ;   in Loop: Header=BB35_35 Depth=1
	ds_read_b64 v[9:10], v12
	s_waitcnt lgkmcnt(0)
	v_fma_f64 v[5:6], -v[7:8], v[9:10], v[5:6]
	s_branch .LBB35_33
.LBB35_42:
	s_and_b64 s[2:3], s[10:11], exec
	s_or_b64 exec, exec, s[6:7]
	s_and_saveexec_b64 s[4:5], s[0:1]
	s_cbranch_execz .LBB35_30
.LBB35_43:
	v_mad_u64_u32 v[7:8], s[0:1], v1, s33, v[4:5]
	v_mov_b32_e32 v0, s13
	v_ashrrev_i32_e32 v8, 31, v7
	v_lshlrev_b64 v[7:8], 3, v[7:8]
	v_add_co_u32_e32 v7, vcc, s12, v7
	v_addc_co_u32_e32 v8, vcc, v0, v8, vcc
	global_store_dwordx2 v[7:8], v[5:6], off
	s_or_b64 exec, exec, s[4:5]
	v_cmp_eq_u32_e32 vcc, 0, v4
	s_and_b64 exec, exec, vcc
	s_cbranch_execz .LBB35_31
.LBB35_44:
	v_mov_b32_e32 v0, s15
	v_add_co_u32_e32 v2, vcc, s14, v2
	v_addc_co_u32_e32 v3, vcc, v0, v3, vcc
	v_mov_b32_e32 v0, 1
	s_waitcnt vmcnt(0) lgkmcnt(0)
	global_store_dword v[2:3], v0, off
	s_and_b64 exec, exec, s[2:3]
	s_cbranch_execz .LBB35_31
; %bb.45:
	s_mov_b64 s[0:1], exec
	v_add_u32_e32 v0, s8, v1
	s_brev_b32 s2, -2
.LBB35_46:                              ; =>This Inner Loop Header: Depth=1
	s_ff1_i32_b64 s3, s[0:1]
	v_readlane_b32 s6, v0, s3
	s_lshl_b64 s[4:5], 1, s3
	s_min_i32 s2, s2, s6
	s_andn2_b64 s[0:1], s[0:1], s[4:5]
	s_cmp_lg_u64 s[0:1], 0
	s_cbranch_scc1 .LBB35_46
; %bb.47:
	v_mbcnt_lo_u32_b32 v0, exec_lo, 0
	v_mbcnt_hi_u32_b32 v0, exec_hi, v0
	v_cmp_eq_u32_e32 vcc, 0, v0
	s_and_saveexec_b64 s[0:1], vcc
	s_xor_b64 s[0:1], exec, s[0:1]
	s_cbranch_execz .LBB35_31
; %bb.48:
	v_mov_b32_e32 v0, 0
	v_mov_b32_e32 v1, s2
	global_atomic_smin v0, v1, s[20:21]
	s_endpgm
	.section	.rodata,"a",@progbits
	.p2align	6, 0x0
	.amdhsa_kernel _ZN9rocsparseL18bsrsv_lower_sharedILj128ELj64ELi32ELb0EdEEviNS_24const_host_device_scalarIT3_EEPKiS5_PKS2_iS7_PS2_PiS9_S9_21rocsparse_index_base_20rocsparse_diag_type_20rocsparse_direction_b
		.amdhsa_group_segment_fixed_size 16896
		.amdhsa_private_segment_fixed_size 0
		.amdhsa_kernarg_size 104
		.amdhsa_user_sgpr_count 6
		.amdhsa_user_sgpr_private_segment_buffer 1
		.amdhsa_user_sgpr_dispatch_ptr 0
		.amdhsa_user_sgpr_queue_ptr 0
		.amdhsa_user_sgpr_kernarg_segment_ptr 1
		.amdhsa_user_sgpr_dispatch_id 0
		.amdhsa_user_sgpr_flat_scratch_init 0
		.amdhsa_user_sgpr_private_segment_size 0
		.amdhsa_uses_dynamic_stack 0
		.amdhsa_system_sgpr_private_segment_wavefront_offset 0
		.amdhsa_system_sgpr_workgroup_id_x 1
		.amdhsa_system_sgpr_workgroup_id_y 0
		.amdhsa_system_sgpr_workgroup_id_z 0
		.amdhsa_system_sgpr_workgroup_info 0
		.amdhsa_system_vgpr_workitem_id 0
		.amdhsa_next_free_vgpr 85
		.amdhsa_next_free_sgpr 98
		.amdhsa_reserve_vcc 1
		.amdhsa_reserve_flat_scratch 0
		.amdhsa_float_round_mode_32 0
		.amdhsa_float_round_mode_16_64 0
		.amdhsa_float_denorm_mode_32 3
		.amdhsa_float_denorm_mode_16_64 3
		.amdhsa_dx10_clamp 1
		.amdhsa_ieee_mode 1
		.amdhsa_fp16_overflow 0
		.amdhsa_exception_fp_ieee_invalid_op 0
		.amdhsa_exception_fp_denorm_src 0
		.amdhsa_exception_fp_ieee_div_zero 0
		.amdhsa_exception_fp_ieee_overflow 0
		.amdhsa_exception_fp_ieee_underflow 0
		.amdhsa_exception_fp_ieee_inexact 0
		.amdhsa_exception_int_div_zero 0
	.end_amdhsa_kernel
	.section	.text._ZN9rocsparseL18bsrsv_lower_sharedILj128ELj64ELi32ELb0EdEEviNS_24const_host_device_scalarIT3_EEPKiS5_PKS2_iS7_PS2_PiS9_S9_21rocsparse_index_base_20rocsparse_diag_type_20rocsparse_direction_b,"axG",@progbits,_ZN9rocsparseL18bsrsv_lower_sharedILj128ELj64ELi32ELb0EdEEviNS_24const_host_device_scalarIT3_EEPKiS5_PKS2_iS7_PS2_PiS9_S9_21rocsparse_index_base_20rocsparse_diag_type_20rocsparse_direction_b,comdat
.Lfunc_end35:
	.size	_ZN9rocsparseL18bsrsv_lower_sharedILj128ELj64ELi32ELb0EdEEviNS_24const_host_device_scalarIT3_EEPKiS5_PKS2_iS7_PS2_PiS9_S9_21rocsparse_index_base_20rocsparse_diag_type_20rocsparse_direction_b, .Lfunc_end35-_ZN9rocsparseL18bsrsv_lower_sharedILj128ELj64ELi32ELb0EdEEviNS_24const_host_device_scalarIT3_EEPKiS5_PKS2_iS7_PS2_PiS9_S9_21rocsparse_index_base_20rocsparse_diag_type_20rocsparse_direction_b
                                        ; -- End function
	.set _ZN9rocsparseL18bsrsv_lower_sharedILj128ELj64ELi32ELb0EdEEviNS_24const_host_device_scalarIT3_EEPKiS5_PKS2_iS7_PS2_PiS9_S9_21rocsparse_index_base_20rocsparse_diag_type_20rocsparse_direction_b.num_vgpr, 35
	.set _ZN9rocsparseL18bsrsv_lower_sharedILj128ELj64ELi32ELb0EdEEviNS_24const_host_device_scalarIT3_EEPKiS5_PKS2_iS7_PS2_PiS9_S9_21rocsparse_index_base_20rocsparse_diag_type_20rocsparse_direction_b.num_agpr, 0
	.set _ZN9rocsparseL18bsrsv_lower_sharedILj128ELj64ELi32ELb0EdEEviNS_24const_host_device_scalarIT3_EEPKiS5_PKS2_iS7_PS2_PiS9_S9_21rocsparse_index_base_20rocsparse_diag_type_20rocsparse_direction_b.numbered_sgpr, 35
	.set _ZN9rocsparseL18bsrsv_lower_sharedILj128ELj64ELi32ELb0EdEEviNS_24const_host_device_scalarIT3_EEPKiS5_PKS2_iS7_PS2_PiS9_S9_21rocsparse_index_base_20rocsparse_diag_type_20rocsparse_direction_b.num_named_barrier, 0
	.set _ZN9rocsparseL18bsrsv_lower_sharedILj128ELj64ELi32ELb0EdEEviNS_24const_host_device_scalarIT3_EEPKiS5_PKS2_iS7_PS2_PiS9_S9_21rocsparse_index_base_20rocsparse_diag_type_20rocsparse_direction_b.private_seg_size, 0
	.set _ZN9rocsparseL18bsrsv_lower_sharedILj128ELj64ELi32ELb0EdEEviNS_24const_host_device_scalarIT3_EEPKiS5_PKS2_iS7_PS2_PiS9_S9_21rocsparse_index_base_20rocsparse_diag_type_20rocsparse_direction_b.uses_vcc, 1
	.set _ZN9rocsparseL18bsrsv_lower_sharedILj128ELj64ELi32ELb0EdEEviNS_24const_host_device_scalarIT3_EEPKiS5_PKS2_iS7_PS2_PiS9_S9_21rocsparse_index_base_20rocsparse_diag_type_20rocsparse_direction_b.uses_flat_scratch, 0
	.set _ZN9rocsparseL18bsrsv_lower_sharedILj128ELj64ELi32ELb0EdEEviNS_24const_host_device_scalarIT3_EEPKiS5_PKS2_iS7_PS2_PiS9_S9_21rocsparse_index_base_20rocsparse_diag_type_20rocsparse_direction_b.has_dyn_sized_stack, 0
	.set _ZN9rocsparseL18bsrsv_lower_sharedILj128ELj64ELi32ELb0EdEEviNS_24const_host_device_scalarIT3_EEPKiS5_PKS2_iS7_PS2_PiS9_S9_21rocsparse_index_base_20rocsparse_diag_type_20rocsparse_direction_b.has_recursion, 0
	.set _ZN9rocsparseL18bsrsv_lower_sharedILj128ELj64ELi32ELb0EdEEviNS_24const_host_device_scalarIT3_EEPKiS5_PKS2_iS7_PS2_PiS9_S9_21rocsparse_index_base_20rocsparse_diag_type_20rocsparse_direction_b.has_indirect_call, 0
	.section	.AMDGPU.csdata,"",@progbits
; Kernel info:
; codeLenInByte = 2136
; TotalNumSgprs: 39
; NumVgprs: 35
; ScratchSize: 0
; MemoryBound: 0
; FloatMode: 240
; IeeeMode: 1
; LDSByteSize: 16896 bytes/workgroup (compile time only)
; SGPRBlocks: 12
; VGPRBlocks: 21
; NumSGPRsForWavesPerEU: 102
; NumVGPRsForWavesPerEU: 85
; Occupancy: 2
; WaveLimiterHint : 1
; COMPUTE_PGM_RSRC2:SCRATCH_EN: 0
; COMPUTE_PGM_RSRC2:USER_SGPR: 6
; COMPUTE_PGM_RSRC2:TRAP_HANDLER: 0
; COMPUTE_PGM_RSRC2:TGID_X_EN: 1
; COMPUTE_PGM_RSRC2:TGID_Y_EN: 0
; COMPUTE_PGM_RSRC2:TGID_Z_EN: 0
; COMPUTE_PGM_RSRC2:TIDIG_COMP_CNT: 0
	.section	.text._ZN9rocsparseL18bsrsv_upper_sharedILj128ELj64ELi32ELb1EdEEviNS_24const_host_device_scalarIT3_EEPKiS5_PKS2_iS7_PS2_PiS9_S9_21rocsparse_index_base_20rocsparse_diag_type_20rocsparse_direction_b,"axG",@progbits,_ZN9rocsparseL18bsrsv_upper_sharedILj128ELj64ELi32ELb1EdEEviNS_24const_host_device_scalarIT3_EEPKiS5_PKS2_iS7_PS2_PiS9_S9_21rocsparse_index_base_20rocsparse_diag_type_20rocsparse_direction_b,comdat
	.globl	_ZN9rocsparseL18bsrsv_upper_sharedILj128ELj64ELi32ELb1EdEEviNS_24const_host_device_scalarIT3_EEPKiS5_PKS2_iS7_PS2_PiS9_S9_21rocsparse_index_base_20rocsparse_diag_type_20rocsparse_direction_b ; -- Begin function _ZN9rocsparseL18bsrsv_upper_sharedILj128ELj64ELi32ELb1EdEEviNS_24const_host_device_scalarIT3_EEPKiS5_PKS2_iS7_PS2_PiS9_S9_21rocsparse_index_base_20rocsparse_diag_type_20rocsparse_direction_b
	.p2align	8
	.type	_ZN9rocsparseL18bsrsv_upper_sharedILj128ELj64ELi32ELb1EdEEviNS_24const_host_device_scalarIT3_EEPKiS5_PKS2_iS7_PS2_PiS9_S9_21rocsparse_index_base_20rocsparse_diag_type_20rocsparse_direction_b,@function
_ZN9rocsparseL18bsrsv_upper_sharedILj128ELj64ELi32ELb1EdEEviNS_24const_host_device_scalarIT3_EEPKiS5_PKS2_iS7_PS2_PiS9_S9_21rocsparse_index_base_20rocsparse_diag_type_20rocsparse_direction_b: ; @_ZN9rocsparseL18bsrsv_upper_sharedILj128ELj64ELi32ELb1EdEEviNS_24const_host_device_scalarIT3_EEPKiS5_PKS2_iS7_PS2_PiS9_S9_21rocsparse_index_base_20rocsparse_diag_type_20rocsparse_direction_b
; %bb.0:
	s_load_dwordx4 s[8:11], s[4:5], 0x58
	s_load_dwordx2 s[0:1], s[4:5], 0x8
	s_waitcnt lgkmcnt(0)
	s_bitcmp1_b32 s11, 0
	s_cselect_b64 s[2:3], -1, 0
	v_mov_b32_e32 v6, s1
	s_and_b64 vcc, exec, s[2:3]
	v_mov_b32_e32 v5, s0
	s_cbranch_vccnz .LBB36_2
; %bb.1:
	v_mov_b32_e32 v2, s1
	v_mov_b32_e32 v1, s0
	flat_load_dwordx2 v[5:6], v[1:2]
.LBB36_2:
	s_load_dword s7, s[4:5], 0x0
	s_lshl_b32 s0, s6, 1
	v_lshrrev_b32_e32 v14, 6, v0
	s_and_b32 s0, s0, 0x3fffffe
	v_or_b32_e32 v1, s0, v14
	s_waitcnt lgkmcnt(0)
	v_cmp_gt_i32_e32 vcc, s7, v1
	s_and_saveexec_b64 s[0:1], vcc
	s_cbranch_execz .LBB36_33
; %bb.3:
	s_load_dwordx2 s[0:1], s[4:5], 0x48
	s_load_dwordx4 s[12:15], s[4:5], 0x38
	v_lshlrev_b32_e32 v1, 2, v1
	v_mov_b32_e32 v9, 0
	v_mov_b32_e32 v10, 0
	s_waitcnt lgkmcnt(0)
	global_load_dword v1, v1, s[0:1]
	s_load_dwordx2 s[0:1], s[4:5], 0x10
	s_load_dword s33, s[4:5], 0x28
	s_waitcnt lgkmcnt(0)
	v_mov_b32_e32 v4, s1
	s_waitcnt vmcnt(0)
	v_ashrrev_i32_e32 v2, 31, v1
	v_lshlrev_b64 v[2:3], 2, v[1:2]
	v_add_co_u32_e32 v7, vcc, s0, v2
	v_addc_co_u32_e32 v8, vcc, v4, v3, vcc
	global_load_dwordx2 v[7:8], v[7:8], off
	v_and_b32_e32 v4, 63, v0
	v_cmp_gt_i32_e64 s[0:1], s33, v4
	s_and_saveexec_b64 s[2:3], s[0:1]
	s_cbranch_execz .LBB36_5
; %bb.4:
	v_mad_u64_u32 v[9:10], s[16:17], v1, s33, v[4:5]
	s_load_dwordx2 s[16:17], s[4:5], 0x30
	v_ashrrev_i32_e32 v10, 31, v9
	v_lshlrev_b64 v[9:10], 3, v[9:10]
	s_waitcnt lgkmcnt(0)
	v_mov_b32_e32 v11, s17
	v_add_co_u32_e32 v9, vcc, s16, v9
	v_addc_co_u32_e32 v10, vcc, v11, v10, vcc
	global_load_dwordx2 v[9:10], v[9:10], off
.LBB36_5:
	s_or_b64 exec, exec, s[2:3]
	s_waitcnt vmcnt(0)
	v_mul_f64 v[5:6], v[5:6], v[9:10]
	s_load_dwordx2 s[20:21], s[4:5], 0x50
	v_subrev_u32_e32 v13, s8, v7
	v_xad_u32 v7, s8, -1, v8
	v_lshlrev_b32_e32 v11, 13, v14
	v_cmp_ge_i32_e32 vcc, v7, v13
	v_mov_b32_e32 v8, s7
	v_lshlrev_b32_e32 v12, 3, v4
	s_and_saveexec_b64 s[22:23], vcc
	s_cbranch_execz .LBB36_30
; %bb.6:
	v_mov_b32_e32 v8, 0x4000
	v_and_b32_e32 v0, 31, v0
	s_load_dwordx4 s[16:19], s[4:5], 0x18
	v_lshl_or_b32 v14, v14, 8, v8
	v_mad_u64_u32 v[8:9], s[4:5], s33, v7, v[0:1]
	v_lshrrev_b32_e32 v15, 5, v4
	s_cmp_lg_u32 s10, 0
	v_mul_lo_u32 v18, s33, v8
	v_add_u32_e32 v17, v11, v12
	v_lshlrev_b32_e32 v8, 8, v15
	v_lshlrev_b32_e32 v9, 3, v0
	v_cmp_gt_i32_e64 s[2:3], s33, v0
	s_cselect_b64 s[10:11], -1, 0
	v_cmp_gt_u32_e64 s[4:5], 32, v4
	v_add_u32_e32 v16, v14, v12
	s_mul_i32 s34, s33, s33
	v_add3_u32 v19, v11, v8, v9
	s_mov_b64 s[24:25], 0
	s_waitcnt lgkmcnt(0)
	v_mov_b32_e32 v20, s17
	v_add_u32_e32 v21, 0x800, v17
	v_add_u32_e32 v22, 0x1000, v17
	v_add_u32_e32 v23, 0x1800, v17
	s_branch .LBB36_9
.LBB36_7:                               ;   in Loop: Header=BB36_9 Depth=1
	s_or_b64 exec, exec, s[6:7]
.LBB36_8:                               ;   in Loop: Header=BB36_9 Depth=1
	s_or_b64 exec, exec, s[26:27]
	v_cmp_le_i32_e64 s[6:7], v7, v13
	s_xor_b64 s[26:27], vcc, -1
	s_or_b64 s[6:7], s[26:27], s[6:7]
	v_add_u32_e32 v9, -1, v7
	s_and_b64 s[6:7], exec, s[6:7]
	v_subrev_u32_e32 v18, s34, v18
	s_or_b64 s[24:25], s[6:7], s[24:25]
	v_mov_b32_e32 v7, v9
	s_andn2_b64 exec, exec, s[24:25]
	s_cbranch_execz .LBB36_29
.LBB36_9:                               ; =>This Loop Header: Depth=1
                                        ;     Child Loop BB36_12 Depth 2
                                        ;     Child Loop BB36_21 Depth 2
                                        ;       Child Loop BB36_22 Depth 3
	v_ashrrev_i32_e32 v8, 31, v7
	v_lshlrev_b64 v[8:9], 2, v[7:8]
	v_mul_lo_u32 v24, v7, s33
	v_add_co_u32_e32 v8, vcc, s16, v8
	v_addc_co_u32_e32 v9, vcc, v20, v9, vcc
	global_load_dword v10, v[8:9], off
	s_mov_b64 s[6:7], 0
	v_mov_b32_e32 v25, v19
	v_mov_b32_e32 v26, v15
	s_branch .LBB36_12
.LBB36_10:                              ;   in Loop: Header=BB36_12 Depth=2
	v_ashrrev_i32_e32 v9, 31, v8
	v_lshlrev_b64 v[8:9], 3, v[8:9]
	v_mov_b32_e32 v27, s19
	v_add_co_u32_e32 v8, vcc, s18, v8
	v_addc_co_u32_e32 v9, vcc, v27, v9, vcc
	global_load_dwordx2 v[8:9], v[8:9], off
.LBB36_11:                              ;   in Loop: Header=BB36_12 Depth=2
	s_or_b64 exec, exec, s[26:27]
	s_waitcnt vmcnt(0)
	ds_write_b64 v25, v[8:9]
	v_add_u32_e32 v8, 2, v26
	v_cmp_lt_u32_e32 vcc, 29, v26
	v_add_u32_e32 v25, 0x200, v25
	s_or_b64 s[6:7], vcc, s[6:7]
	v_mov_b32_e32 v26, v8
	s_andn2_b64 exec, exec, s[6:7]
	s_cbranch_execz .LBB36_17
.LBB36_12:                              ;   Parent Loop BB36_9 Depth=1
                                        ; =>  This Inner Loop Header: Depth=2
	v_cmp_gt_i32_e32 vcc, s33, v26
	v_mov_b32_e32 v8, 0
	v_mov_b32_e32 v9, 0
	s_and_b64 s[28:29], s[2:3], vcc
	s_and_saveexec_b64 s[26:27], s[28:29]
	s_cbranch_execz .LBB36_11
; %bb.13:                               ;   in Loop: Header=BB36_12 Depth=2
	s_and_b64 vcc, exec, s[10:11]
	s_cbranch_vccz .LBB36_15
; %bb.14:                               ;   in Loop: Header=BB36_12 Depth=2
	v_add_u32_e32 v8, v26, v24
	v_mad_u64_u32 v[8:9], s[28:29], v8, s33, v[0:1]
	s_cbranch_execnz .LBB36_10
	s_branch .LBB36_16
.LBB36_15:                              ;   in Loop: Header=BB36_12 Depth=2
                                        ; implicit-def: $vgpr8
.LBB36_16:                              ;   in Loop: Header=BB36_12 Depth=2
	v_add_u32_e32 v8, v18, v26
	s_branch .LBB36_10
.LBB36_17:                              ;   in Loop: Header=BB36_9 Depth=1
	s_or_b64 exec, exec, s[6:7]
	v_subrev_u32_e32 v8, s8, v10
	v_cmp_gt_i32_e32 vcc, v8, v1
	s_and_saveexec_b64 s[26:27], vcc
	s_cbranch_execz .LBB36_8
; %bb.18:                               ;   in Loop: Header=BB36_9 Depth=1
	v_ashrrev_i32_e32 v9, 31, v8
	v_lshlrev_b64 v[9:10], 2, v[8:9]
	v_mov_b32_e32 v24, s15
	v_add_co_u32_e64 v9, s[6:7], s14, v9
	v_addc_co_u32_e64 v10, s[6:7], v24, v10, s[6:7]
	global_load_dword v24, v[9:10], off glc
	s_waitcnt vmcnt(0)
	v_cmp_eq_u32_e64 s[6:7], 0, v24
	s_and_saveexec_b64 s[28:29], s[6:7]
	s_cbranch_execz .LBB36_23
; %bb.19:                               ;   in Loop: Header=BB36_9 Depth=1
	s_mov_b32 s17, 0
	s_mov_b64 s[30:31], 0
	s_branch .LBB36_21
.LBB36_20:                              ;   in Loop: Header=BB36_21 Depth=2
	global_load_dword v24, v[9:10], off glc
	s_cmpk_lt_u32 s17, 0xf43
	s_cselect_b64 s[6:7], -1, 0
	s_cmp_lg_u64 s[6:7], 0
	s_addc_u32 s17, s17, 0
	s_waitcnt vmcnt(0)
	v_cmp_ne_u32_e64 s[6:7], 0, v24
	s_or_b64 s[30:31], s[6:7], s[30:31]
	s_andn2_b64 exec, exec, s[30:31]
	s_cbranch_execz .LBB36_23
.LBB36_21:                              ;   Parent Loop BB36_9 Depth=1
                                        ; =>  This Loop Header: Depth=2
                                        ;       Child Loop BB36_22 Depth 3
	s_cmp_eq_u32 s17, 0
	s_mov_b32 s6, s17
	s_cbranch_scc1 .LBB36_20
.LBB36_22:                              ;   Parent Loop BB36_9 Depth=1
                                        ;     Parent Loop BB36_21 Depth=2
                                        ; =>    This Inner Loop Header: Depth=3
	s_add_i32 s6, s6, -1
	s_cmp_eq_u32 s6, 0
	s_sleep 1
	s_cbranch_scc0 .LBB36_22
	s_branch .LBB36_20
.LBB36_23:                              ;   in Loop: Header=BB36_9 Depth=1
	s_or_b64 exec, exec, s[28:29]
	s_waitcnt lgkmcnt(0)
	buffer_wbinvl1_vol
	s_and_saveexec_b64 s[28:29], s[4:5]
	s_cbranch_execz .LBB36_27
; %bb.24:                               ;   in Loop: Header=BB36_9 Depth=1
	v_mov_b32_e32 v9, 0
	v_mov_b32_e32 v10, 0
	s_and_saveexec_b64 s[30:31], s[0:1]
	s_cbranch_execz .LBB36_26
; %bb.25:                               ;   in Loop: Header=BB36_9 Depth=1
	v_mad_u64_u32 v[9:10], s[6:7], v8, s33, v[4:5]
	v_mov_b32_e32 v24, s13
	v_ashrrev_i32_e32 v10, 31, v9
	v_lshlrev_b64 v[9:10], 3, v[9:10]
	v_add_co_u32_e64 v9, s[6:7], s12, v9
	v_addc_co_u32_e64 v10, s[6:7], v24, v10, s[6:7]
	global_load_dwordx2 v[9:10], v[9:10], off
.LBB36_26:                              ;   in Loop: Header=BB36_9 Depth=1
	s_or_b64 exec, exec, s[30:31]
	s_waitcnt vmcnt(0)
	ds_write_b64 v16, v[9:10]
.LBB36_27:                              ;   in Loop: Header=BB36_9 Depth=1
	s_or_b64 exec, exec, s[28:29]
	s_waitcnt lgkmcnt(0)
	s_and_saveexec_b64 s[6:7], s[0:1]
	s_cbranch_execz .LBB36_7
; %bb.28:                               ;   in Loop: Header=BB36_9 Depth=1
	ds_read2_b64 v[24:27], v17 offset1:32
	ds_read_b128 v[28:31], v14
	ds_read_b128 v[32:35], v14 offset:16
	s_waitcnt lgkmcnt(1)
	v_fma_f64 v[5:6], -v[24:25], v[28:29], v[5:6]
	v_fma_f64 v[5:6], -v[26:27], v[30:31], v[5:6]
	ds_read2_b64 v[24:27], v17 offset0:64 offset1:96
	s_waitcnt lgkmcnt(0)
	v_fma_f64 v[5:6], -v[24:25], v[32:33], v[5:6]
	v_fma_f64 v[5:6], -v[26:27], v[34:35], v[5:6]
	ds_read2_b64 v[24:27], v17 offset0:128 offset1:160
	ds_read_b128 v[28:31], v14 offset:32
	ds_read_b128 v[32:35], v14 offset:48
	s_waitcnt lgkmcnt(1)
	v_fma_f64 v[5:6], -v[24:25], v[28:29], v[5:6]
	v_fma_f64 v[5:6], -v[26:27], v[30:31], v[5:6]
	ds_read2_b64 v[24:27], v17 offset0:192 offset1:224
	s_waitcnt lgkmcnt(0)
	v_fma_f64 v[5:6], -v[24:25], v[32:33], v[5:6]
	v_fma_f64 v[5:6], -v[26:27], v[34:35], v[5:6]
	ds_read2_b64 v[24:27], v21 offset1:32
	ds_read_b128 v[28:31], v14 offset:64
	ds_read_b128 v[32:35], v14 offset:80
	s_waitcnt lgkmcnt(1)
	v_fma_f64 v[5:6], -v[24:25], v[28:29], v[5:6]
	v_fma_f64 v[5:6], -v[26:27], v[30:31], v[5:6]
	ds_read2_b64 v[24:27], v21 offset0:64 offset1:96
	s_waitcnt lgkmcnt(0)
	v_fma_f64 v[5:6], -v[24:25], v[32:33], v[5:6]
	v_fma_f64 v[5:6], -v[26:27], v[34:35], v[5:6]
	ds_read2_b64 v[24:27], v21 offset0:128 offset1:160
	ds_read_b128 v[28:31], v14 offset:96
	ds_read_b128 v[32:35], v14 offset:112
	s_waitcnt lgkmcnt(1)
	v_fma_f64 v[5:6], -v[24:25], v[28:29], v[5:6]
	v_fma_f64 v[5:6], -v[26:27], v[30:31], v[5:6]
	ds_read2_b64 v[24:27], v21 offset0:192 offset1:224
	s_waitcnt lgkmcnt(0)
	v_fma_f64 v[5:6], -v[24:25], v[32:33], v[5:6]
	v_fma_f64 v[5:6], -v[26:27], v[34:35], v[5:6]
	ds_read2_b64 v[24:27], v22 offset1:32
	ds_read_b128 v[28:31], v14 offset:128
	;; [unrolled: 20-line block ×3, first 2 shown]
	ds_read_b128 v[32:35], v14 offset:208
	s_waitcnt lgkmcnt(1)
	v_fma_f64 v[5:6], -v[24:25], v[28:29], v[5:6]
	v_fma_f64 v[5:6], -v[26:27], v[30:31], v[5:6]
	ds_read2_b64 v[24:27], v23 offset0:64 offset1:96
	s_waitcnt lgkmcnt(0)
	v_fma_f64 v[5:6], -v[24:25], v[32:33], v[5:6]
	v_fma_f64 v[5:6], -v[26:27], v[34:35], v[5:6]
	ds_read2_b64 v[24:27], v23 offset0:128 offset1:160
	ds_read_b128 v[28:31], v14 offset:224
	ds_read_b128 v[32:35], v14 offset:240
	s_waitcnt lgkmcnt(1)
	v_fma_f64 v[5:6], -v[24:25], v[28:29], v[5:6]
	v_fma_f64 v[5:6], -v[26:27], v[30:31], v[5:6]
	ds_read2_b64 v[24:27], v23 offset0:192 offset1:224
	s_waitcnt lgkmcnt(0)
	v_fma_f64 v[5:6], -v[24:25], v[32:33], v[5:6]
	v_fma_f64 v[5:6], -v[26:27], v[34:35], v[5:6]
	s_branch .LBB36_7
.LBB36_29:
	s_or_b64 exec, exec, s[24:25]
.LBB36_30:
	s_or_b64 exec, exec, s[22:23]
	s_cmp_gt_i32 s33, 0
	v_cmp_eq_u32_e32 vcc, v8, v1
	s_cselect_b64 s[2:3], -1, 0
	s_and_b64 s[4:5], s[2:3], vcc
	s_mov_b64 s[2:3], 0
	s_and_saveexec_b64 s[6:7], s[4:5]
	s_cbranch_execnz .LBB36_34
; %bb.31:
	s_or_b64 exec, exec, s[6:7]
	s_and_saveexec_b64 s[4:5], s[0:1]
	s_cbranch_execnz .LBB36_45
.LBB36_32:
	s_or_b64 exec, exec, s[4:5]
	v_cmp_eq_u32_e32 vcc, 0, v4
	s_and_b64 exec, exec, vcc
	s_cbranch_execnz .LBB36_46
.LBB36_33:
	s_endpgm
.LBB36_34:
	v_lshl_add_u32 v7, s33, 8, v11
	s_movk_i32 s4, 0xff00
	s_cmp_eq_u32 s9, 0
	v_add3_u32 v12, v7, v12, s4
	s_mul_i32 s4, s33, 0x108
	s_cselect_b64 s[2:3], -1, 0
	v_mbcnt_lo_u32_b32 v0, -1, 0
	v_add_u32_e32 v7, s4, v11
	v_mbcnt_hi_u32_b32 v0, -1, v0
	v_add_u32_e32 v11, 0xfffffef8, v7
	v_cndmask_b32_e64 v7, 0, 1, s[2:3]
	v_and_b32_e32 v0, 64, v0
	s_add_i32 s9, s33, -1
	s_mov_b64 s[10:11], 0
	v_cmp_ne_u32_e64 s[2:3], 1, v7
	v_mov_b32_e32 v7, 0
	v_mov_b32_e32 v8, 0x3ff00000
	s_and_b64 vcc, exec, s[2:3]
	s_cbranch_vccnz .LBB36_36
.LBB36_35:
	ds_read_b64 v[7:8], v11
.LBB36_36:                              ; =>This Inner Loop Header: Depth=1
	s_waitcnt lgkmcnt(0)
	v_cmp_eq_f64_e64 s[4:5], 0, v[7:8]
	v_and_or_b32 v9, s9, 63, v0
	v_lshlrev_b32_e32 v10, 2, v9
	ds_bpermute_b32 v9, v10, v5
	ds_bpermute_b32 v10, v10, v6
	s_and_saveexec_b64 s[16:17], s[0:1]
	s_cbranch_execz .LBB36_42
; %bb.37:                               ;   in Loop: Header=BB36_36 Depth=1
	s_waitcnt lgkmcnt(0)
	v_div_scale_f64 v[13:14], s[18:19], v[7:8], v[7:8], v[9:10]
	v_rcp_f64_e32 v[15:16], v[13:14]
	v_fma_f64 v[17:18], -v[13:14], v[15:16], 1.0
	v_fma_f64 v[15:16], v[15:16], v[17:18], v[15:16]
	v_div_scale_f64 v[17:18], vcc, v[9:10], v[7:8], v[9:10]
	v_fma_f64 v[19:20], -v[13:14], v[15:16], 1.0
	v_fma_f64 v[15:16], v[15:16], v[19:20], v[15:16]
	v_mul_f64 v[19:20], v[17:18], v[15:16]
	v_fma_f64 v[13:14], -v[13:14], v[19:20], v[17:18]
	v_div_fmas_f64 v[13:14], v[13:14], v[15:16], v[19:20]
	v_cmp_le_i32_e32 vcc, s9, v4
	v_div_fixup_f64 v[7:8], v[13:14], v[7:8], v[9:10]
	v_cndmask_b32_e64 v8, v8, v10, s[4:5]
	v_cndmask_b32_e64 v7, v7, v9, s[4:5]
	s_and_saveexec_b64 s[18:19], vcc
	s_xor_b64 s[18:19], exec, s[18:19]
; %bb.38:                               ;   in Loop: Header=BB36_36 Depth=1
	v_cmp_eq_u32_e32 vcc, s9, v4
	v_cndmask_b32_e32 v6, v6, v8, vcc
	v_cndmask_b32_e32 v5, v5, v7, vcc
                                        ; implicit-def: $vgpr7_vgpr8
; %bb.39:                               ;   in Loop: Header=BB36_36 Depth=1
	s_andn2_saveexec_b64 s[18:19], s[18:19]
	s_cbranch_execz .LBB36_41
; %bb.40:                               ;   in Loop: Header=BB36_36 Depth=1
	ds_read_b64 v[9:10], v12
	s_waitcnt lgkmcnt(0)
	v_fma_f64 v[5:6], -v[7:8], v[9:10], v[5:6]
.LBB36_41:                              ;   in Loop: Header=BB36_36 Depth=1
	s_or_b64 exec, exec, s[18:19]
.LBB36_42:                              ;   in Loop: Header=BB36_36 Depth=1
	s_or_b64 exec, exec, s[16:17]
	s_or_b64 s[10:11], s[4:5], s[10:11]
	s_add_i32 s4, s9, -1
	s_add_i32 s5, s9, 1
	v_add_u32_e32 v12, 0xffffff00, v12
	s_cmp_gt_u32 s5, 1
	v_add_u32_e32 v11, 0xfffffef8, v11
	s_cbranch_scc0 .LBB36_44
; %bb.43:                               ;   in Loop: Header=BB36_36 Depth=1
	s_mov_b32 s9, s4
	v_mov_b32_e32 v7, 0
	v_mov_b32_e32 v8, 0x3ff00000
	s_and_b64 vcc, exec, s[2:3]
	s_cbranch_vccnz .LBB36_36
	s_branch .LBB36_35
.LBB36_44:
	s_and_b64 s[2:3], s[10:11], exec
	s_or_b64 exec, exec, s[6:7]
	s_and_saveexec_b64 s[4:5], s[0:1]
	s_cbranch_execz .LBB36_32
.LBB36_45:
	v_mad_u64_u32 v[7:8], s[0:1], v1, s33, v[4:5]
	v_mov_b32_e32 v0, s13
	v_ashrrev_i32_e32 v8, 31, v7
	v_lshlrev_b64 v[7:8], 3, v[7:8]
	v_add_co_u32_e32 v7, vcc, s12, v7
	v_addc_co_u32_e32 v8, vcc, v0, v8, vcc
	global_store_dwordx2 v[7:8], v[5:6], off
	s_or_b64 exec, exec, s[4:5]
	v_cmp_eq_u32_e32 vcc, 0, v4
	s_and_b64 exec, exec, vcc
	s_cbranch_execz .LBB36_33
.LBB36_46:
	v_mov_b32_e32 v0, s15
	v_add_co_u32_e32 v2, vcc, s14, v2
	v_addc_co_u32_e32 v3, vcc, v0, v3, vcc
	v_mov_b32_e32 v0, 1
	s_waitcnt vmcnt(0) lgkmcnt(0)
	global_store_dword v[2:3], v0, off
	s_and_b64 exec, exec, s[2:3]
	s_cbranch_execz .LBB36_33
; %bb.47:
	s_mov_b64 s[0:1], exec
	v_add_u32_e32 v0, s8, v1
	s_brev_b32 s2, -2
.LBB36_48:                              ; =>This Inner Loop Header: Depth=1
	s_ff1_i32_b64 s3, s[0:1]
	v_readlane_b32 s6, v0, s3
	s_lshl_b64 s[4:5], 1, s3
	s_min_i32 s2, s2, s6
	s_andn2_b64 s[0:1], s[0:1], s[4:5]
	s_cmp_lg_u64 s[0:1], 0
	s_cbranch_scc1 .LBB36_48
; %bb.49:
	v_mbcnt_lo_u32_b32 v0, exec_lo, 0
	v_mbcnt_hi_u32_b32 v0, exec_hi, v0
	v_cmp_eq_u32_e32 vcc, 0, v0
	s_and_saveexec_b64 s[0:1], vcc
	s_xor_b64 s[0:1], exec, s[0:1]
	s_cbranch_execz .LBB36_33
; %bb.50:
	v_mov_b32_e32 v0, 0
	v_mov_b32_e32 v1, s2
	global_atomic_smin v0, v1, s[20:21]
	s_endpgm
	.section	.rodata,"a",@progbits
	.p2align	6, 0x0
	.amdhsa_kernel _ZN9rocsparseL18bsrsv_upper_sharedILj128ELj64ELi32ELb1EdEEviNS_24const_host_device_scalarIT3_EEPKiS5_PKS2_iS7_PS2_PiS9_S9_21rocsparse_index_base_20rocsparse_diag_type_20rocsparse_direction_b
		.amdhsa_group_segment_fixed_size 16896
		.amdhsa_private_segment_fixed_size 0
		.amdhsa_kernarg_size 104
		.amdhsa_user_sgpr_count 6
		.amdhsa_user_sgpr_private_segment_buffer 1
		.amdhsa_user_sgpr_dispatch_ptr 0
		.amdhsa_user_sgpr_queue_ptr 0
		.amdhsa_user_sgpr_kernarg_segment_ptr 1
		.amdhsa_user_sgpr_dispatch_id 0
		.amdhsa_user_sgpr_flat_scratch_init 0
		.amdhsa_user_sgpr_private_segment_size 0
		.amdhsa_uses_dynamic_stack 0
		.amdhsa_system_sgpr_private_segment_wavefront_offset 0
		.amdhsa_system_sgpr_workgroup_id_x 1
		.amdhsa_system_sgpr_workgroup_id_y 0
		.amdhsa_system_sgpr_workgroup_id_z 0
		.amdhsa_system_sgpr_workgroup_info 0
		.amdhsa_system_vgpr_workitem_id 0
		.amdhsa_next_free_vgpr 85
		.amdhsa_next_free_sgpr 98
		.amdhsa_reserve_vcc 1
		.amdhsa_reserve_flat_scratch 0
		.amdhsa_float_round_mode_32 0
		.amdhsa_float_round_mode_16_64 0
		.amdhsa_float_denorm_mode_32 3
		.amdhsa_float_denorm_mode_16_64 3
		.amdhsa_dx10_clamp 1
		.amdhsa_ieee_mode 1
		.amdhsa_fp16_overflow 0
		.amdhsa_exception_fp_ieee_invalid_op 0
		.amdhsa_exception_fp_denorm_src 0
		.amdhsa_exception_fp_ieee_div_zero 0
		.amdhsa_exception_fp_ieee_overflow 0
		.amdhsa_exception_fp_ieee_underflow 0
		.amdhsa_exception_fp_ieee_inexact 0
		.amdhsa_exception_int_div_zero 0
	.end_amdhsa_kernel
	.section	.text._ZN9rocsparseL18bsrsv_upper_sharedILj128ELj64ELi32ELb1EdEEviNS_24const_host_device_scalarIT3_EEPKiS5_PKS2_iS7_PS2_PiS9_S9_21rocsparse_index_base_20rocsparse_diag_type_20rocsparse_direction_b,"axG",@progbits,_ZN9rocsparseL18bsrsv_upper_sharedILj128ELj64ELi32ELb1EdEEviNS_24const_host_device_scalarIT3_EEPKiS5_PKS2_iS7_PS2_PiS9_S9_21rocsparse_index_base_20rocsparse_diag_type_20rocsparse_direction_b,comdat
.Lfunc_end36:
	.size	_ZN9rocsparseL18bsrsv_upper_sharedILj128ELj64ELi32ELb1EdEEviNS_24const_host_device_scalarIT3_EEPKiS5_PKS2_iS7_PS2_PiS9_S9_21rocsparse_index_base_20rocsparse_diag_type_20rocsparse_direction_b, .Lfunc_end36-_ZN9rocsparseL18bsrsv_upper_sharedILj128ELj64ELi32ELb1EdEEviNS_24const_host_device_scalarIT3_EEPKiS5_PKS2_iS7_PS2_PiS9_S9_21rocsparse_index_base_20rocsparse_diag_type_20rocsparse_direction_b
                                        ; -- End function
	.set _ZN9rocsparseL18bsrsv_upper_sharedILj128ELj64ELi32ELb1EdEEviNS_24const_host_device_scalarIT3_EEPKiS5_PKS2_iS7_PS2_PiS9_S9_21rocsparse_index_base_20rocsparse_diag_type_20rocsparse_direction_b.num_vgpr, 36
	.set _ZN9rocsparseL18bsrsv_upper_sharedILj128ELj64ELi32ELb1EdEEviNS_24const_host_device_scalarIT3_EEPKiS5_PKS2_iS7_PS2_PiS9_S9_21rocsparse_index_base_20rocsparse_diag_type_20rocsparse_direction_b.num_agpr, 0
	.set _ZN9rocsparseL18bsrsv_upper_sharedILj128ELj64ELi32ELb1EdEEviNS_24const_host_device_scalarIT3_EEPKiS5_PKS2_iS7_PS2_PiS9_S9_21rocsparse_index_base_20rocsparse_diag_type_20rocsparse_direction_b.numbered_sgpr, 35
	.set _ZN9rocsparseL18bsrsv_upper_sharedILj128ELj64ELi32ELb1EdEEviNS_24const_host_device_scalarIT3_EEPKiS5_PKS2_iS7_PS2_PiS9_S9_21rocsparse_index_base_20rocsparse_diag_type_20rocsparse_direction_b.num_named_barrier, 0
	.set _ZN9rocsparseL18bsrsv_upper_sharedILj128ELj64ELi32ELb1EdEEviNS_24const_host_device_scalarIT3_EEPKiS5_PKS2_iS7_PS2_PiS9_S9_21rocsparse_index_base_20rocsparse_diag_type_20rocsparse_direction_b.private_seg_size, 0
	.set _ZN9rocsparseL18bsrsv_upper_sharedILj128ELj64ELi32ELb1EdEEviNS_24const_host_device_scalarIT3_EEPKiS5_PKS2_iS7_PS2_PiS9_S9_21rocsparse_index_base_20rocsparse_diag_type_20rocsparse_direction_b.uses_vcc, 1
	.set _ZN9rocsparseL18bsrsv_upper_sharedILj128ELj64ELi32ELb1EdEEviNS_24const_host_device_scalarIT3_EEPKiS5_PKS2_iS7_PS2_PiS9_S9_21rocsparse_index_base_20rocsparse_diag_type_20rocsparse_direction_b.uses_flat_scratch, 0
	.set _ZN9rocsparseL18bsrsv_upper_sharedILj128ELj64ELi32ELb1EdEEviNS_24const_host_device_scalarIT3_EEPKiS5_PKS2_iS7_PS2_PiS9_S9_21rocsparse_index_base_20rocsparse_diag_type_20rocsparse_direction_b.has_dyn_sized_stack, 0
	.set _ZN9rocsparseL18bsrsv_upper_sharedILj128ELj64ELi32ELb1EdEEviNS_24const_host_device_scalarIT3_EEPKiS5_PKS2_iS7_PS2_PiS9_S9_21rocsparse_index_base_20rocsparse_diag_type_20rocsparse_direction_b.has_recursion, 0
	.set _ZN9rocsparseL18bsrsv_upper_sharedILj128ELj64ELi32ELb1EdEEviNS_24const_host_device_scalarIT3_EEPKiS5_PKS2_iS7_PS2_PiS9_S9_21rocsparse_index_base_20rocsparse_diag_type_20rocsparse_direction_b.has_indirect_call, 0
	.section	.AMDGPU.csdata,"",@progbits
; Kernel info:
; codeLenInByte = 2256
; TotalNumSgprs: 39
; NumVgprs: 36
; ScratchSize: 0
; MemoryBound: 0
; FloatMode: 240
; IeeeMode: 1
; LDSByteSize: 16896 bytes/workgroup (compile time only)
; SGPRBlocks: 12
; VGPRBlocks: 21
; NumSGPRsForWavesPerEU: 102
; NumVGPRsForWavesPerEU: 85
; Occupancy: 2
; WaveLimiterHint : 1
; COMPUTE_PGM_RSRC2:SCRATCH_EN: 0
; COMPUTE_PGM_RSRC2:USER_SGPR: 6
; COMPUTE_PGM_RSRC2:TRAP_HANDLER: 0
; COMPUTE_PGM_RSRC2:TGID_X_EN: 1
; COMPUTE_PGM_RSRC2:TGID_Y_EN: 0
; COMPUTE_PGM_RSRC2:TGID_Z_EN: 0
; COMPUTE_PGM_RSRC2:TIDIG_COMP_CNT: 0
	.section	.text._ZN9rocsparseL18bsrsv_upper_sharedILj128ELj64ELi32ELb0EdEEviNS_24const_host_device_scalarIT3_EEPKiS5_PKS2_iS7_PS2_PiS9_S9_21rocsparse_index_base_20rocsparse_diag_type_20rocsparse_direction_b,"axG",@progbits,_ZN9rocsparseL18bsrsv_upper_sharedILj128ELj64ELi32ELb0EdEEviNS_24const_host_device_scalarIT3_EEPKiS5_PKS2_iS7_PS2_PiS9_S9_21rocsparse_index_base_20rocsparse_diag_type_20rocsparse_direction_b,comdat
	.globl	_ZN9rocsparseL18bsrsv_upper_sharedILj128ELj64ELi32ELb0EdEEviNS_24const_host_device_scalarIT3_EEPKiS5_PKS2_iS7_PS2_PiS9_S9_21rocsparse_index_base_20rocsparse_diag_type_20rocsparse_direction_b ; -- Begin function _ZN9rocsparseL18bsrsv_upper_sharedILj128ELj64ELi32ELb0EdEEviNS_24const_host_device_scalarIT3_EEPKiS5_PKS2_iS7_PS2_PiS9_S9_21rocsparse_index_base_20rocsparse_diag_type_20rocsparse_direction_b
	.p2align	8
	.type	_ZN9rocsparseL18bsrsv_upper_sharedILj128ELj64ELi32ELb0EdEEviNS_24const_host_device_scalarIT3_EEPKiS5_PKS2_iS7_PS2_PiS9_S9_21rocsparse_index_base_20rocsparse_diag_type_20rocsparse_direction_b,@function
_ZN9rocsparseL18bsrsv_upper_sharedILj128ELj64ELi32ELb0EdEEviNS_24const_host_device_scalarIT3_EEPKiS5_PKS2_iS7_PS2_PiS9_S9_21rocsparse_index_base_20rocsparse_diag_type_20rocsparse_direction_b: ; @_ZN9rocsparseL18bsrsv_upper_sharedILj128ELj64ELi32ELb0EdEEviNS_24const_host_device_scalarIT3_EEPKiS5_PKS2_iS7_PS2_PiS9_S9_21rocsparse_index_base_20rocsparse_diag_type_20rocsparse_direction_b
; %bb.0:
	s_load_dwordx4 s[8:11], s[4:5], 0x58
	s_load_dwordx2 s[0:1], s[4:5], 0x8
	s_waitcnt lgkmcnt(0)
	s_bitcmp1_b32 s11, 0
	s_cselect_b64 s[2:3], -1, 0
	v_mov_b32_e32 v6, s1
	s_and_b64 vcc, exec, s[2:3]
	v_mov_b32_e32 v5, s0
	s_cbranch_vccnz .LBB37_2
; %bb.1:
	v_mov_b32_e32 v2, s1
	v_mov_b32_e32 v1, s0
	flat_load_dwordx2 v[5:6], v[1:2]
.LBB37_2:
	s_load_dword s7, s[4:5], 0x0
	s_lshl_b32 s0, s6, 1
	v_lshrrev_b32_e32 v14, 6, v0
	s_and_b32 s0, s0, 0x3fffffe
	v_or_b32_e32 v1, s0, v14
	s_waitcnt lgkmcnt(0)
	v_cmp_gt_i32_e32 vcc, s7, v1
	s_and_saveexec_b64 s[0:1], vcc
	s_cbranch_execz .LBB37_31
; %bb.3:
	s_load_dwordx2 s[0:1], s[4:5], 0x48
	s_load_dwordx4 s[12:15], s[4:5], 0x38
	v_lshlrev_b32_e32 v1, 2, v1
	v_mov_b32_e32 v9, 0
	v_mov_b32_e32 v10, 0
	s_waitcnt lgkmcnt(0)
	global_load_dword v1, v1, s[0:1]
	s_load_dwordx2 s[0:1], s[4:5], 0x10
	s_load_dword s33, s[4:5], 0x28
	s_waitcnt lgkmcnt(0)
	v_mov_b32_e32 v4, s1
	s_waitcnt vmcnt(0)
	v_ashrrev_i32_e32 v2, 31, v1
	v_lshlrev_b64 v[2:3], 2, v[1:2]
	v_add_co_u32_e32 v7, vcc, s0, v2
	v_addc_co_u32_e32 v8, vcc, v4, v3, vcc
	global_load_dwordx2 v[7:8], v[7:8], off
	v_and_b32_e32 v4, 63, v0
	v_cmp_gt_i32_e64 s[0:1], s33, v4
	s_and_saveexec_b64 s[2:3], s[0:1]
	s_cbranch_execz .LBB37_5
; %bb.4:
	v_mad_u64_u32 v[9:10], s[16:17], v1, s33, v[4:5]
	s_load_dwordx2 s[16:17], s[4:5], 0x30
	v_ashrrev_i32_e32 v10, 31, v9
	v_lshlrev_b64 v[9:10], 3, v[9:10]
	s_waitcnt lgkmcnt(0)
	v_mov_b32_e32 v11, s17
	v_add_co_u32_e32 v9, vcc, s16, v9
	v_addc_co_u32_e32 v10, vcc, v11, v10, vcc
	global_load_dwordx2 v[9:10], v[9:10], off
.LBB37_5:
	s_or_b64 exec, exec, s[2:3]
	s_waitcnt vmcnt(0)
	v_mul_f64 v[5:6], v[5:6], v[9:10]
	s_load_dwordx2 s[20:21], s[4:5], 0x50
	v_subrev_u32_e32 v13, s8, v7
	v_xad_u32 v7, s8, -1, v8
	v_lshlrev_b32_e32 v11, 13, v14
	v_cmp_ge_i32_e32 vcc, v7, v13
	v_mov_b32_e32 v8, s7
	v_lshlrev_b32_e32 v12, 3, v4
	s_and_saveexec_b64 s[22:23], vcc
	s_cbranch_execz .LBB37_28
; %bb.6:
	v_mov_b32_e32 v8, 0x4000
	v_and_b32_e32 v0, 31, v0
	s_load_dwordx4 s[16:19], s[4:5], 0x18
	v_lshl_or_b32 v14, v14, 8, v8
	v_mad_u64_u32 v[8:9], s[4:5], s33, v7, v[0:1]
	v_lshrrev_b32_e32 v15, 5, v4
	s_cmp_lg_u32 s10, 0
	v_mul_lo_u32 v18, s33, v8
	v_add_u32_e32 v17, v11, v12
	v_lshlrev_b32_e32 v8, 8, v15
	v_lshlrev_b32_e32 v9, 3, v0
	v_cmp_gt_i32_e64 s[2:3], s33, v0
	s_cselect_b64 s[10:11], -1, 0
	v_cmp_gt_u32_e64 s[4:5], 32, v4
	v_add_u32_e32 v16, v14, v12
	s_mul_i32 s34, s33, s33
	v_add3_u32 v19, v11, v8, v9
	s_mov_b64 s[24:25], 0
	s_waitcnt lgkmcnt(0)
	v_mov_b32_e32 v20, s17
	v_add_u32_e32 v21, 0x800, v17
	v_add_u32_e32 v22, 0x1000, v17
	;; [unrolled: 1-line block ×3, first 2 shown]
	s_branch .LBB37_9
.LBB37_7:                               ;   in Loop: Header=BB37_9 Depth=1
	s_or_b64 exec, exec, s[6:7]
.LBB37_8:                               ;   in Loop: Header=BB37_9 Depth=1
	s_or_b64 exec, exec, s[26:27]
	v_cmp_le_i32_e64 s[6:7], v7, v13
	s_xor_b64 s[26:27], vcc, -1
	s_or_b64 s[6:7], s[26:27], s[6:7]
	v_add_u32_e32 v9, -1, v7
	s_and_b64 s[6:7], exec, s[6:7]
	v_subrev_u32_e32 v18, s34, v18
	s_or_b64 s[24:25], s[6:7], s[24:25]
	v_mov_b32_e32 v7, v9
	s_andn2_b64 exec, exec, s[24:25]
	s_cbranch_execz .LBB37_27
.LBB37_9:                               ; =>This Loop Header: Depth=1
                                        ;     Child Loop BB37_12 Depth 2
                                        ;     Child Loop BB37_20 Depth 2
	v_ashrrev_i32_e32 v8, 31, v7
	v_lshlrev_b64 v[8:9], 2, v[7:8]
	v_mul_lo_u32 v24, v7, s33
	v_add_co_u32_e32 v8, vcc, s16, v8
	v_addc_co_u32_e32 v9, vcc, v20, v9, vcc
	global_load_dword v10, v[8:9], off
	s_mov_b64 s[6:7], 0
	v_mov_b32_e32 v25, v19
	v_mov_b32_e32 v26, v15
	s_branch .LBB37_12
.LBB37_10:                              ;   in Loop: Header=BB37_12 Depth=2
	v_ashrrev_i32_e32 v9, 31, v8
	v_lshlrev_b64 v[8:9], 3, v[8:9]
	v_mov_b32_e32 v27, s19
	v_add_co_u32_e32 v8, vcc, s18, v8
	v_addc_co_u32_e32 v9, vcc, v27, v9, vcc
	global_load_dwordx2 v[8:9], v[8:9], off
.LBB37_11:                              ;   in Loop: Header=BB37_12 Depth=2
	s_or_b64 exec, exec, s[26:27]
	s_waitcnt vmcnt(0)
	ds_write_b64 v25, v[8:9]
	v_add_u32_e32 v8, 2, v26
	v_cmp_lt_u32_e32 vcc, 29, v26
	v_add_u32_e32 v25, 0x200, v25
	s_or_b64 s[6:7], vcc, s[6:7]
	v_mov_b32_e32 v26, v8
	s_andn2_b64 exec, exec, s[6:7]
	s_cbranch_execz .LBB37_17
.LBB37_12:                              ;   Parent Loop BB37_9 Depth=1
                                        ; =>  This Inner Loop Header: Depth=2
	v_cmp_gt_i32_e32 vcc, s33, v26
	v_mov_b32_e32 v8, 0
	v_mov_b32_e32 v9, 0
	s_and_b64 s[28:29], s[2:3], vcc
	s_and_saveexec_b64 s[26:27], s[28:29]
	s_cbranch_execz .LBB37_11
; %bb.13:                               ;   in Loop: Header=BB37_12 Depth=2
	s_and_b64 vcc, exec, s[10:11]
	s_cbranch_vccz .LBB37_15
; %bb.14:                               ;   in Loop: Header=BB37_12 Depth=2
	v_add_u32_e32 v8, v26, v24
	v_mad_u64_u32 v[8:9], s[28:29], v8, s33, v[0:1]
	s_cbranch_execnz .LBB37_10
	s_branch .LBB37_16
.LBB37_15:                              ;   in Loop: Header=BB37_12 Depth=2
                                        ; implicit-def: $vgpr8
.LBB37_16:                              ;   in Loop: Header=BB37_12 Depth=2
	v_add_u32_e32 v8, v18, v26
	s_branch .LBB37_10
.LBB37_17:                              ;   in Loop: Header=BB37_9 Depth=1
	s_or_b64 exec, exec, s[6:7]
	v_subrev_u32_e32 v8, s8, v10
	v_cmp_gt_i32_e32 vcc, v8, v1
	s_and_saveexec_b64 s[26:27], vcc
	s_cbranch_execz .LBB37_8
; %bb.18:                               ;   in Loop: Header=BB37_9 Depth=1
	v_ashrrev_i32_e32 v9, 31, v8
	v_lshlrev_b64 v[9:10], 2, v[8:9]
	v_mov_b32_e32 v24, s15
	v_add_co_u32_e64 v9, s[6:7], s14, v9
	v_addc_co_u32_e64 v10, s[6:7], v24, v10, s[6:7]
	global_load_dword v24, v[9:10], off glc
	s_waitcnt vmcnt(0)
	v_cmp_eq_u32_e64 s[6:7], 0, v24
	s_and_saveexec_b64 s[28:29], s[6:7]
	s_cbranch_execz .LBB37_21
; %bb.19:                               ;   in Loop: Header=BB37_9 Depth=1
	s_mov_b64 s[30:31], 0
.LBB37_20:                              ;   Parent Loop BB37_9 Depth=1
                                        ; =>  This Inner Loop Header: Depth=2
	global_load_dword v24, v[9:10], off glc
	s_waitcnt vmcnt(0)
	v_cmp_ne_u32_e64 s[6:7], 0, v24
	s_or_b64 s[30:31], s[6:7], s[30:31]
	s_andn2_b64 exec, exec, s[30:31]
	s_cbranch_execnz .LBB37_20
.LBB37_21:                              ;   in Loop: Header=BB37_9 Depth=1
	s_or_b64 exec, exec, s[28:29]
	s_waitcnt lgkmcnt(0)
	buffer_wbinvl1_vol
	s_and_saveexec_b64 s[28:29], s[4:5]
	s_cbranch_execz .LBB37_25
; %bb.22:                               ;   in Loop: Header=BB37_9 Depth=1
	v_mov_b32_e32 v9, 0
	v_mov_b32_e32 v10, 0
	s_and_saveexec_b64 s[30:31], s[0:1]
	s_cbranch_execz .LBB37_24
; %bb.23:                               ;   in Loop: Header=BB37_9 Depth=1
	v_mad_u64_u32 v[9:10], s[6:7], v8, s33, v[4:5]
	v_mov_b32_e32 v24, s13
	v_ashrrev_i32_e32 v10, 31, v9
	v_lshlrev_b64 v[9:10], 3, v[9:10]
	v_add_co_u32_e64 v9, s[6:7], s12, v9
	v_addc_co_u32_e64 v10, s[6:7], v24, v10, s[6:7]
	global_load_dwordx2 v[9:10], v[9:10], off
.LBB37_24:                              ;   in Loop: Header=BB37_9 Depth=1
	s_or_b64 exec, exec, s[30:31]
	s_waitcnt vmcnt(0)
	ds_write_b64 v16, v[9:10]
.LBB37_25:                              ;   in Loop: Header=BB37_9 Depth=1
	s_or_b64 exec, exec, s[28:29]
	s_waitcnt lgkmcnt(0)
	s_and_saveexec_b64 s[6:7], s[0:1]
	s_cbranch_execz .LBB37_7
; %bb.26:                               ;   in Loop: Header=BB37_9 Depth=1
	ds_read2_b64 v[24:27], v17 offset1:32
	ds_read_b128 v[28:31], v14
	ds_read_b128 v[32:35], v14 offset:16
	s_waitcnt lgkmcnt(1)
	v_fma_f64 v[5:6], -v[24:25], v[28:29], v[5:6]
	v_fma_f64 v[5:6], -v[26:27], v[30:31], v[5:6]
	ds_read2_b64 v[24:27], v17 offset0:64 offset1:96
	s_waitcnt lgkmcnt(0)
	v_fma_f64 v[5:6], -v[24:25], v[32:33], v[5:6]
	v_fma_f64 v[5:6], -v[26:27], v[34:35], v[5:6]
	ds_read2_b64 v[24:27], v17 offset0:128 offset1:160
	ds_read_b128 v[28:31], v14 offset:32
	ds_read_b128 v[32:35], v14 offset:48
	s_waitcnt lgkmcnt(1)
	v_fma_f64 v[5:6], -v[24:25], v[28:29], v[5:6]
	v_fma_f64 v[5:6], -v[26:27], v[30:31], v[5:6]
	ds_read2_b64 v[24:27], v17 offset0:192 offset1:224
	s_waitcnt lgkmcnt(0)
	v_fma_f64 v[5:6], -v[24:25], v[32:33], v[5:6]
	v_fma_f64 v[5:6], -v[26:27], v[34:35], v[5:6]
	ds_read2_b64 v[24:27], v21 offset1:32
	ds_read_b128 v[28:31], v14 offset:64
	ds_read_b128 v[32:35], v14 offset:80
	s_waitcnt lgkmcnt(1)
	v_fma_f64 v[5:6], -v[24:25], v[28:29], v[5:6]
	v_fma_f64 v[5:6], -v[26:27], v[30:31], v[5:6]
	ds_read2_b64 v[24:27], v21 offset0:64 offset1:96
	s_waitcnt lgkmcnt(0)
	v_fma_f64 v[5:6], -v[24:25], v[32:33], v[5:6]
	v_fma_f64 v[5:6], -v[26:27], v[34:35], v[5:6]
	ds_read2_b64 v[24:27], v21 offset0:128 offset1:160
	ds_read_b128 v[28:31], v14 offset:96
	ds_read_b128 v[32:35], v14 offset:112
	s_waitcnt lgkmcnt(1)
	v_fma_f64 v[5:6], -v[24:25], v[28:29], v[5:6]
	v_fma_f64 v[5:6], -v[26:27], v[30:31], v[5:6]
	ds_read2_b64 v[24:27], v21 offset0:192 offset1:224
	s_waitcnt lgkmcnt(0)
	v_fma_f64 v[5:6], -v[24:25], v[32:33], v[5:6]
	v_fma_f64 v[5:6], -v[26:27], v[34:35], v[5:6]
	ds_read2_b64 v[24:27], v22 offset1:32
	ds_read_b128 v[28:31], v14 offset:128
	;; [unrolled: 20-line block ×3, first 2 shown]
	ds_read_b128 v[32:35], v14 offset:208
	s_waitcnt lgkmcnt(1)
	v_fma_f64 v[5:6], -v[24:25], v[28:29], v[5:6]
	v_fma_f64 v[5:6], -v[26:27], v[30:31], v[5:6]
	ds_read2_b64 v[24:27], v23 offset0:64 offset1:96
	s_waitcnt lgkmcnt(0)
	v_fma_f64 v[5:6], -v[24:25], v[32:33], v[5:6]
	v_fma_f64 v[5:6], -v[26:27], v[34:35], v[5:6]
	ds_read2_b64 v[24:27], v23 offset0:128 offset1:160
	ds_read_b128 v[28:31], v14 offset:224
	ds_read_b128 v[32:35], v14 offset:240
	s_waitcnt lgkmcnt(1)
	v_fma_f64 v[5:6], -v[24:25], v[28:29], v[5:6]
	v_fma_f64 v[5:6], -v[26:27], v[30:31], v[5:6]
	ds_read2_b64 v[24:27], v23 offset0:192 offset1:224
	s_waitcnt lgkmcnt(0)
	v_fma_f64 v[5:6], -v[24:25], v[32:33], v[5:6]
	v_fma_f64 v[5:6], -v[26:27], v[34:35], v[5:6]
	s_branch .LBB37_7
.LBB37_27:
	s_or_b64 exec, exec, s[24:25]
.LBB37_28:
	s_or_b64 exec, exec, s[22:23]
	s_cmp_gt_i32 s33, 0
	v_cmp_eq_u32_e32 vcc, v8, v1
	s_cselect_b64 s[2:3], -1, 0
	s_and_b64 s[4:5], s[2:3], vcc
	s_mov_b64 s[2:3], 0
	s_and_saveexec_b64 s[6:7], s[4:5]
	s_cbranch_execnz .LBB37_32
; %bb.29:
	s_or_b64 exec, exec, s[6:7]
	s_and_saveexec_b64 s[4:5], s[0:1]
	s_cbranch_execnz .LBB37_43
.LBB37_30:
	s_or_b64 exec, exec, s[4:5]
	v_cmp_eq_u32_e32 vcc, 0, v4
	s_and_b64 exec, exec, vcc
	s_cbranch_execnz .LBB37_44
.LBB37_31:
	s_endpgm
.LBB37_32:
	v_lshl_add_u32 v7, s33, 8, v11
	s_movk_i32 s4, 0xff00
	s_cmp_eq_u32 s9, 0
	v_add3_u32 v12, v7, v12, s4
	s_mul_i32 s4, s33, 0x108
	s_cselect_b64 s[2:3], -1, 0
	v_mbcnt_lo_u32_b32 v0, -1, 0
	v_add_u32_e32 v7, s4, v11
	v_mbcnt_hi_u32_b32 v0, -1, v0
	v_add_u32_e32 v11, 0xfffffef8, v7
	v_cndmask_b32_e64 v7, 0, 1, s[2:3]
	v_and_b32_e32 v0, 64, v0
	s_add_i32 s9, s33, -1
	s_mov_b64 s[10:11], 0
	v_cmp_ne_u32_e64 s[2:3], 1, v7
	v_mov_b32_e32 v7, 0
	v_mov_b32_e32 v8, 0x3ff00000
	s_and_b64 vcc, exec, s[2:3]
	s_cbranch_vccnz .LBB37_34
.LBB37_33:
	ds_read_b64 v[7:8], v11
.LBB37_34:                              ; =>This Inner Loop Header: Depth=1
	s_waitcnt lgkmcnt(0)
	v_cmp_eq_f64_e64 s[4:5], 0, v[7:8]
	v_and_or_b32 v9, s9, 63, v0
	v_lshlrev_b32_e32 v10, 2, v9
	ds_bpermute_b32 v9, v10, v5
	ds_bpermute_b32 v10, v10, v6
	s_and_saveexec_b64 s[16:17], s[0:1]
	s_cbranch_execz .LBB37_40
; %bb.35:                               ;   in Loop: Header=BB37_34 Depth=1
	s_waitcnt lgkmcnt(0)
	v_div_scale_f64 v[13:14], s[18:19], v[7:8], v[7:8], v[9:10]
	v_rcp_f64_e32 v[15:16], v[13:14]
	v_fma_f64 v[17:18], -v[13:14], v[15:16], 1.0
	v_fma_f64 v[15:16], v[15:16], v[17:18], v[15:16]
	v_div_scale_f64 v[17:18], vcc, v[9:10], v[7:8], v[9:10]
	v_fma_f64 v[19:20], -v[13:14], v[15:16], 1.0
	v_fma_f64 v[15:16], v[15:16], v[19:20], v[15:16]
	v_mul_f64 v[19:20], v[17:18], v[15:16]
	v_fma_f64 v[13:14], -v[13:14], v[19:20], v[17:18]
	v_div_fmas_f64 v[13:14], v[13:14], v[15:16], v[19:20]
	v_cmp_le_i32_e32 vcc, s9, v4
	v_div_fixup_f64 v[7:8], v[13:14], v[7:8], v[9:10]
	v_cndmask_b32_e64 v8, v8, v10, s[4:5]
	v_cndmask_b32_e64 v7, v7, v9, s[4:5]
	s_and_saveexec_b64 s[18:19], vcc
	s_xor_b64 s[18:19], exec, s[18:19]
; %bb.36:                               ;   in Loop: Header=BB37_34 Depth=1
	v_cmp_eq_u32_e32 vcc, s9, v4
	v_cndmask_b32_e32 v6, v6, v8, vcc
	v_cndmask_b32_e32 v5, v5, v7, vcc
                                        ; implicit-def: $vgpr7_vgpr8
; %bb.37:                               ;   in Loop: Header=BB37_34 Depth=1
	s_andn2_saveexec_b64 s[18:19], s[18:19]
	s_cbranch_execz .LBB37_39
; %bb.38:                               ;   in Loop: Header=BB37_34 Depth=1
	ds_read_b64 v[9:10], v12
	s_waitcnt lgkmcnt(0)
	v_fma_f64 v[5:6], -v[7:8], v[9:10], v[5:6]
.LBB37_39:                              ;   in Loop: Header=BB37_34 Depth=1
	s_or_b64 exec, exec, s[18:19]
.LBB37_40:                              ;   in Loop: Header=BB37_34 Depth=1
	s_or_b64 exec, exec, s[16:17]
	s_or_b64 s[10:11], s[4:5], s[10:11]
	s_add_i32 s4, s9, -1
	s_add_i32 s5, s9, 1
	v_add_u32_e32 v12, 0xffffff00, v12
	s_cmp_gt_u32 s5, 1
	v_add_u32_e32 v11, 0xfffffef8, v11
	s_cbranch_scc0 .LBB37_42
; %bb.41:                               ;   in Loop: Header=BB37_34 Depth=1
	s_mov_b32 s9, s4
	v_mov_b32_e32 v7, 0
	v_mov_b32_e32 v8, 0x3ff00000
	s_and_b64 vcc, exec, s[2:3]
	s_cbranch_vccnz .LBB37_34
	s_branch .LBB37_33
.LBB37_42:
	s_and_b64 s[2:3], s[10:11], exec
	s_or_b64 exec, exec, s[6:7]
	s_and_saveexec_b64 s[4:5], s[0:1]
	s_cbranch_execz .LBB37_30
.LBB37_43:
	v_mad_u64_u32 v[7:8], s[0:1], v1, s33, v[4:5]
	v_mov_b32_e32 v0, s13
	v_ashrrev_i32_e32 v8, 31, v7
	v_lshlrev_b64 v[7:8], 3, v[7:8]
	v_add_co_u32_e32 v7, vcc, s12, v7
	v_addc_co_u32_e32 v8, vcc, v0, v8, vcc
	global_store_dwordx2 v[7:8], v[5:6], off
	s_or_b64 exec, exec, s[4:5]
	v_cmp_eq_u32_e32 vcc, 0, v4
	s_and_b64 exec, exec, vcc
	s_cbranch_execz .LBB37_31
.LBB37_44:
	v_mov_b32_e32 v0, s15
	v_add_co_u32_e32 v2, vcc, s14, v2
	v_addc_co_u32_e32 v3, vcc, v0, v3, vcc
	v_mov_b32_e32 v0, 1
	s_waitcnt vmcnt(0) lgkmcnt(0)
	global_store_dword v[2:3], v0, off
	s_and_b64 exec, exec, s[2:3]
	s_cbranch_execz .LBB37_31
; %bb.45:
	s_mov_b64 s[0:1], exec
	v_add_u32_e32 v0, s8, v1
	s_brev_b32 s2, -2
.LBB37_46:                              ; =>This Inner Loop Header: Depth=1
	s_ff1_i32_b64 s3, s[0:1]
	v_readlane_b32 s6, v0, s3
	s_lshl_b64 s[4:5], 1, s3
	s_min_i32 s2, s2, s6
	s_andn2_b64 s[0:1], s[0:1], s[4:5]
	s_cmp_lg_u64 s[0:1], 0
	s_cbranch_scc1 .LBB37_46
; %bb.47:
	v_mbcnt_lo_u32_b32 v0, exec_lo, 0
	v_mbcnt_hi_u32_b32 v0, exec_hi, v0
	v_cmp_eq_u32_e32 vcc, 0, v0
	s_and_saveexec_b64 s[0:1], vcc
	s_xor_b64 s[0:1], exec, s[0:1]
	s_cbranch_execz .LBB37_31
; %bb.48:
	v_mov_b32_e32 v0, 0
	v_mov_b32_e32 v1, s2
	global_atomic_smin v0, v1, s[20:21]
	s_endpgm
	.section	.rodata,"a",@progbits
	.p2align	6, 0x0
	.amdhsa_kernel _ZN9rocsparseL18bsrsv_upper_sharedILj128ELj64ELi32ELb0EdEEviNS_24const_host_device_scalarIT3_EEPKiS5_PKS2_iS7_PS2_PiS9_S9_21rocsparse_index_base_20rocsparse_diag_type_20rocsparse_direction_b
		.amdhsa_group_segment_fixed_size 16896
		.amdhsa_private_segment_fixed_size 0
		.amdhsa_kernarg_size 104
		.amdhsa_user_sgpr_count 6
		.amdhsa_user_sgpr_private_segment_buffer 1
		.amdhsa_user_sgpr_dispatch_ptr 0
		.amdhsa_user_sgpr_queue_ptr 0
		.amdhsa_user_sgpr_kernarg_segment_ptr 1
		.amdhsa_user_sgpr_dispatch_id 0
		.amdhsa_user_sgpr_flat_scratch_init 0
		.amdhsa_user_sgpr_private_segment_size 0
		.amdhsa_uses_dynamic_stack 0
		.amdhsa_system_sgpr_private_segment_wavefront_offset 0
		.amdhsa_system_sgpr_workgroup_id_x 1
		.amdhsa_system_sgpr_workgroup_id_y 0
		.amdhsa_system_sgpr_workgroup_id_z 0
		.amdhsa_system_sgpr_workgroup_info 0
		.amdhsa_system_vgpr_workitem_id 0
		.amdhsa_next_free_vgpr 85
		.amdhsa_next_free_sgpr 98
		.amdhsa_reserve_vcc 1
		.amdhsa_reserve_flat_scratch 0
		.amdhsa_float_round_mode_32 0
		.amdhsa_float_round_mode_16_64 0
		.amdhsa_float_denorm_mode_32 3
		.amdhsa_float_denorm_mode_16_64 3
		.amdhsa_dx10_clamp 1
		.amdhsa_ieee_mode 1
		.amdhsa_fp16_overflow 0
		.amdhsa_exception_fp_ieee_invalid_op 0
		.amdhsa_exception_fp_denorm_src 0
		.amdhsa_exception_fp_ieee_div_zero 0
		.amdhsa_exception_fp_ieee_overflow 0
		.amdhsa_exception_fp_ieee_underflow 0
		.amdhsa_exception_fp_ieee_inexact 0
		.amdhsa_exception_int_div_zero 0
	.end_amdhsa_kernel
	.section	.text._ZN9rocsparseL18bsrsv_upper_sharedILj128ELj64ELi32ELb0EdEEviNS_24const_host_device_scalarIT3_EEPKiS5_PKS2_iS7_PS2_PiS9_S9_21rocsparse_index_base_20rocsparse_diag_type_20rocsparse_direction_b,"axG",@progbits,_ZN9rocsparseL18bsrsv_upper_sharedILj128ELj64ELi32ELb0EdEEviNS_24const_host_device_scalarIT3_EEPKiS5_PKS2_iS7_PS2_PiS9_S9_21rocsparse_index_base_20rocsparse_diag_type_20rocsparse_direction_b,comdat
.Lfunc_end37:
	.size	_ZN9rocsparseL18bsrsv_upper_sharedILj128ELj64ELi32ELb0EdEEviNS_24const_host_device_scalarIT3_EEPKiS5_PKS2_iS7_PS2_PiS9_S9_21rocsparse_index_base_20rocsparse_diag_type_20rocsparse_direction_b, .Lfunc_end37-_ZN9rocsparseL18bsrsv_upper_sharedILj128ELj64ELi32ELb0EdEEviNS_24const_host_device_scalarIT3_EEPKiS5_PKS2_iS7_PS2_PiS9_S9_21rocsparse_index_base_20rocsparse_diag_type_20rocsparse_direction_b
                                        ; -- End function
	.set _ZN9rocsparseL18bsrsv_upper_sharedILj128ELj64ELi32ELb0EdEEviNS_24const_host_device_scalarIT3_EEPKiS5_PKS2_iS7_PS2_PiS9_S9_21rocsparse_index_base_20rocsparse_diag_type_20rocsparse_direction_b.num_vgpr, 36
	.set _ZN9rocsparseL18bsrsv_upper_sharedILj128ELj64ELi32ELb0EdEEviNS_24const_host_device_scalarIT3_EEPKiS5_PKS2_iS7_PS2_PiS9_S9_21rocsparse_index_base_20rocsparse_diag_type_20rocsparse_direction_b.num_agpr, 0
	.set _ZN9rocsparseL18bsrsv_upper_sharedILj128ELj64ELi32ELb0EdEEviNS_24const_host_device_scalarIT3_EEPKiS5_PKS2_iS7_PS2_PiS9_S9_21rocsparse_index_base_20rocsparse_diag_type_20rocsparse_direction_b.numbered_sgpr, 35
	.set _ZN9rocsparseL18bsrsv_upper_sharedILj128ELj64ELi32ELb0EdEEviNS_24const_host_device_scalarIT3_EEPKiS5_PKS2_iS7_PS2_PiS9_S9_21rocsparse_index_base_20rocsparse_diag_type_20rocsparse_direction_b.num_named_barrier, 0
	.set _ZN9rocsparseL18bsrsv_upper_sharedILj128ELj64ELi32ELb0EdEEviNS_24const_host_device_scalarIT3_EEPKiS5_PKS2_iS7_PS2_PiS9_S9_21rocsparse_index_base_20rocsparse_diag_type_20rocsparse_direction_b.private_seg_size, 0
	.set _ZN9rocsparseL18bsrsv_upper_sharedILj128ELj64ELi32ELb0EdEEviNS_24const_host_device_scalarIT3_EEPKiS5_PKS2_iS7_PS2_PiS9_S9_21rocsparse_index_base_20rocsparse_diag_type_20rocsparse_direction_b.uses_vcc, 1
	.set _ZN9rocsparseL18bsrsv_upper_sharedILj128ELj64ELi32ELb0EdEEviNS_24const_host_device_scalarIT3_EEPKiS5_PKS2_iS7_PS2_PiS9_S9_21rocsparse_index_base_20rocsparse_diag_type_20rocsparse_direction_b.uses_flat_scratch, 0
	.set _ZN9rocsparseL18bsrsv_upper_sharedILj128ELj64ELi32ELb0EdEEviNS_24const_host_device_scalarIT3_EEPKiS5_PKS2_iS7_PS2_PiS9_S9_21rocsparse_index_base_20rocsparse_diag_type_20rocsparse_direction_b.has_dyn_sized_stack, 0
	.set _ZN9rocsparseL18bsrsv_upper_sharedILj128ELj64ELi32ELb0EdEEviNS_24const_host_device_scalarIT3_EEPKiS5_PKS2_iS7_PS2_PiS9_S9_21rocsparse_index_base_20rocsparse_diag_type_20rocsparse_direction_b.has_recursion, 0
	.set _ZN9rocsparseL18bsrsv_upper_sharedILj128ELj64ELi32ELb0EdEEviNS_24const_host_device_scalarIT3_EEPKiS5_PKS2_iS7_PS2_PiS9_S9_21rocsparse_index_base_20rocsparse_diag_type_20rocsparse_direction_b.has_indirect_call, 0
	.section	.AMDGPU.csdata,"",@progbits
; Kernel info:
; codeLenInByte = 2200
; TotalNumSgprs: 39
; NumVgprs: 36
; ScratchSize: 0
; MemoryBound: 0
; FloatMode: 240
; IeeeMode: 1
; LDSByteSize: 16896 bytes/workgroup (compile time only)
; SGPRBlocks: 12
; VGPRBlocks: 21
; NumSGPRsForWavesPerEU: 102
; NumVGPRsForWavesPerEU: 85
; Occupancy: 2
; WaveLimiterHint : 1
; COMPUTE_PGM_RSRC2:SCRATCH_EN: 0
; COMPUTE_PGM_RSRC2:USER_SGPR: 6
; COMPUTE_PGM_RSRC2:TRAP_HANDLER: 0
; COMPUTE_PGM_RSRC2:TGID_X_EN: 1
; COMPUTE_PGM_RSRC2:TGID_Y_EN: 0
; COMPUTE_PGM_RSRC2:TGID_Z_EN: 0
; COMPUTE_PGM_RSRC2:TIDIG_COMP_CNT: 0
	.section	.text._ZN9rocsparseL19bsrsv_lower_generalILj128ELj64ELb1EdEEviNS_24const_host_device_scalarIT2_EEPKiS5_PKS2_iS7_PS2_PiS9_S9_21rocsparse_index_base_20rocsparse_diag_type_20rocsparse_direction_b,"axG",@progbits,_ZN9rocsparseL19bsrsv_lower_generalILj128ELj64ELb1EdEEviNS_24const_host_device_scalarIT2_EEPKiS5_PKS2_iS7_PS2_PiS9_S9_21rocsparse_index_base_20rocsparse_diag_type_20rocsparse_direction_b,comdat
	.globl	_ZN9rocsparseL19bsrsv_lower_generalILj128ELj64ELb1EdEEviNS_24const_host_device_scalarIT2_EEPKiS5_PKS2_iS7_PS2_PiS9_S9_21rocsparse_index_base_20rocsparse_diag_type_20rocsparse_direction_b ; -- Begin function _ZN9rocsparseL19bsrsv_lower_generalILj128ELj64ELb1EdEEviNS_24const_host_device_scalarIT2_EEPKiS5_PKS2_iS7_PS2_PiS9_S9_21rocsparse_index_base_20rocsparse_diag_type_20rocsparse_direction_b
	.p2align	8
	.type	_ZN9rocsparseL19bsrsv_lower_generalILj128ELj64ELb1EdEEviNS_24const_host_device_scalarIT2_EEPKiS5_PKS2_iS7_PS2_PiS9_S9_21rocsparse_index_base_20rocsparse_diag_type_20rocsparse_direction_b,@function
_ZN9rocsparseL19bsrsv_lower_generalILj128ELj64ELb1EdEEviNS_24const_host_device_scalarIT2_EEPKiS5_PKS2_iS7_PS2_PiS9_S9_21rocsparse_index_base_20rocsparse_diag_type_20rocsparse_direction_b: ; @_ZN9rocsparseL19bsrsv_lower_generalILj128ELj64ELb1EdEEviNS_24const_host_device_scalarIT2_EEPKiS5_PKS2_iS7_PS2_PiS9_S9_21rocsparse_index_base_20rocsparse_diag_type_20rocsparse_direction_b
; %bb.0:
	s_load_dwordx4 s[16:19], s[4:5], 0x58
	s_load_dwordx2 s[0:1], s[4:5], 0x8
	s_waitcnt lgkmcnt(0)
	s_bitcmp1_b32 s19, 0
	s_cselect_b64 s[2:3], -1, 0
	v_mov_b32_e32 v5, s1
	s_and_b64 vcc, exec, s[2:3]
	v_mov_b32_e32 v4, s0
	s_cbranch_vccnz .LBB38_2
; %bb.1:
	v_mov_b32_e32 v2, s1
	v_mov_b32_e32 v1, s0
	flat_load_dwordx2 v[4:5], v[1:2]
.LBB38_2:
	s_load_dword s19, s[4:5], 0x0
	s_lshl_b32 s0, s6, 1
	v_lshrrev_b32_e32 v1, 6, v0
	s_and_b32 s0, s0, 0x3fffffe
	v_or_b32_e32 v1, s0, v1
	s_waitcnt lgkmcnt(0)
	v_cmp_gt_i32_e32 vcc, s19, v1
	s_and_saveexec_b64 s[0:1], vcc
	s_cbranch_execz .LBB38_45
; %bb.3:
	s_load_dwordx8 s[8:15], s[4:5], 0x38
	v_lshlrev_b32_e32 v1, 2, v1
	s_load_dword s33, s[4:5], 0x28
	v_and_b32_e32 v0, 63, v0
	s_waitcnt lgkmcnt(0)
	global_load_dword v1, v1, s[12:13]
	s_load_dwordx4 s[0:3], s[4:5], 0x10
	s_load_dwordx2 s[6:7], s[4:5], 0x20
	s_waitcnt lgkmcnt(0)
	v_mov_b32_e32 v7, s1
	s_waitcnt vmcnt(0)
	v_ashrrev_i32_e32 v2, 31, v1
	v_lshlrev_b64 v[2:3], 2, v[1:2]
	v_add_co_u32_e32 v6, vcc, s0, v2
	v_addc_co_u32_e32 v7, vcc, v7, v3, vcc
	global_load_dwordx2 v[6:7], v[6:7], off
	v_cmp_gt_i32_e64 s[0:1], s33, v0
	s_and_saveexec_b64 s[12:13], s[0:1]
	s_cbranch_execz .LBB38_6
; %bb.4:
	v_mad_u64_u32 v[8:9], s[20:21], v1, s33, v[0:1]
	s_load_dwordx2 s[4:5], s[4:5], 0x30
	v_mov_b32_e32 v12, s9
	v_ashrrev_i32_e32 v9, 31, v8
	v_lshlrev_b64 v[10:11], 3, v[8:9]
	s_waitcnt lgkmcnt(0)
	v_mov_b32_e32 v9, s5
	v_add_co_u32_e32 v8, vcc, s4, v10
	v_addc_co_u32_e32 v9, vcc, v9, v11, vcc
	v_add_co_u32_e32 v10, vcc, s8, v10
	v_addc_co_u32_e32 v11, vcc, v12, v11, vcc
	s_mov_b64 s[4:5], 0
	v_mov_b32_e32 v12, v0
.LBB38_5:                               ; =>This Inner Loop Header: Depth=1
	global_load_dwordx2 v[13:14], v[8:9], off
	v_add_co_u32_e32 v8, vcc, 0x200, v8
	v_add_u32_e32 v12, 64, v12
	v_addc_co_u32_e32 v9, vcc, 0, v9, vcc
	v_cmp_le_i32_e32 vcc, s33, v12
	s_or_b64 s[4:5], vcc, s[4:5]
	s_waitcnt vmcnt(0)
	v_mul_f64 v[13:14], v[4:5], v[13:14]
	global_store_dwordx2 v[10:11], v[13:14], off
	v_add_co_u32_e32 v10, vcc, 0x200, v10
	v_addc_co_u32_e32 v11, vcc, 0, v11, vcc
	s_andn2_b64 exec, exec, s[4:5]
	s_cbranch_execnz .LBB38_5
.LBB38_6:
	s_or_b64 exec, exec, s[12:13]
	v_mul_lo_u32 v11, v1, s33
	s_waitcnt vmcnt(0)
	v_subrev_u32_e32 v4, s16, v6
	v_cmp_lt_i32_e32 vcc, v6, v7
	v_mov_b32_e32 v5, s19
	s_and_saveexec_b64 s[4:5], vcc
	s_cbranch_execz .LBB38_26
; %bb.7:
	v_mad_u64_u32 v[5:6], s[12:13], s33, v4, v[0:1]
	s_cmp_lg_u32 s18, 0
	v_subrev_u32_e32 v12, s16, v7
	v_mul_lo_u32 v13, s33, v5
	s_cselect_b64 s[12:13], -1, 0
	s_mul_i32 s19, s33, s33
	s_lshl_b32 s34, s33, 6
	s_mov_b64 s[20:21], 0
	v_mov_b32_e32 v14, s3
                                        ; implicit-def: $sgpr22_sgpr23
	s_branch .LBB38_10
.LBB38_8:                               ;   in Loop: Header=BB38_10 Depth=1
	s_or_b64 exec, exec, s[26:27]
	v_add_u32_e32 v4, 1, v4
	v_cmp_ge_i32_e32 vcc, v4, v12
	s_andn2_b64 s[22:23], s[22:23], exec
	s_and_b64 s[26:27], vcc, exec
	v_add_u32_e32 v13, s19, v13
	s_or_b64 s[22:23], s[22:23], s[26:27]
.LBB38_9:                               ;   in Loop: Header=BB38_10 Depth=1
	s_or_b64 exec, exec, s[24:25]
	s_and_b64 s[24:25], exec, s[22:23]
	s_or_b64 s[20:21], s[24:25], s[20:21]
	s_andn2_b64 exec, exec, s[20:21]
	s_cbranch_execz .LBB38_25
.LBB38_10:                              ; =>This Loop Header: Depth=1
                                        ;     Child Loop BB38_14 Depth 2
                                        ;       Child Loop BB38_15 Depth 3
                                        ;     Child Loop BB38_19 Depth 2
                                        ;       Child Loop BB38_21 Depth 3
	v_ashrrev_i32_e32 v5, 31, v4
	v_lshlrev_b64 v[5:6], 2, v[4:5]
	s_or_b64 s[22:23], s[22:23], exec
	v_add_co_u32_e32 v5, vcc, s2, v5
	v_addc_co_u32_e32 v6, vcc, v14, v6, vcc
	global_load_dword v5, v[5:6], off
	s_waitcnt vmcnt(0)
	v_subrev_u32_e32 v5, s16, v5
	v_cmp_lt_i32_e32 vcc, v5, v1
	s_and_saveexec_b64 s[24:25], vcc
	s_cbranch_execz .LBB38_9
; %bb.11:                               ;   in Loop: Header=BB38_10 Depth=1
	v_ashrrev_i32_e32 v6, 31, v5
	v_lshlrev_b64 v[6:7], 2, v[5:6]
	v_mov_b32_e32 v8, s11
	v_add_co_u32_e32 v6, vcc, s10, v6
	v_addc_co_u32_e32 v7, vcc, v8, v7, vcc
	global_load_dword v8, v[6:7], off glc
	s_waitcnt vmcnt(0)
	v_cmp_eq_u32_e32 vcc, 0, v8
	s_and_saveexec_b64 s[26:27], vcc
	s_cbranch_execz .LBB38_16
; %bb.12:                               ;   in Loop: Header=BB38_10 Depth=1
	s_mov_b32 s3, 0
	s_mov_b64 s[28:29], 0
	s_branch .LBB38_14
.LBB38_13:                              ;   in Loop: Header=BB38_14 Depth=2
	global_load_dword v8, v[6:7], off glc
	s_cmpk_lt_u32 s3, 0xf43
	s_cselect_b64 s[30:31], -1, 0
	s_cmp_lg_u64 s[30:31], 0
	s_addc_u32 s3, s3, 0
	s_waitcnt vmcnt(0)
	v_cmp_ne_u32_e32 vcc, 0, v8
	s_or_b64 s[28:29], vcc, s[28:29]
	s_andn2_b64 exec, exec, s[28:29]
	s_cbranch_execz .LBB38_16
.LBB38_14:                              ;   Parent Loop BB38_10 Depth=1
                                        ; =>  This Loop Header: Depth=2
                                        ;       Child Loop BB38_15 Depth 3
	s_cmp_eq_u32 s3, 0
	s_mov_b32 s30, s3
	s_cbranch_scc1 .LBB38_13
.LBB38_15:                              ;   Parent Loop BB38_10 Depth=1
                                        ;     Parent Loop BB38_14 Depth=2
                                        ; =>    This Inner Loop Header: Depth=3
	s_add_i32 s30, s30, -1
	s_cmp_eq_u32 s30, 0
	s_sleep 1
	s_cbranch_scc0 .LBB38_15
	s_branch .LBB38_13
.LBB38_16:                              ;   in Loop: Header=BB38_10 Depth=1
	s_or_b64 exec, exec, s[26:27]
	buffer_wbinvl1_vol
	s_and_saveexec_b64 s[26:27], s[0:1]
	s_cbranch_execz .LBB38_8
; %bb.17:                               ;   in Loop: Header=BB38_10 Depth=1
	v_mul_lo_u32 v15, v4, s33
	v_mul_lo_u32 v16, v5, s33
	s_mov_b64 s[28:29], 0
	v_mov_b32_e32 v17, v13
	v_mov_b32_e32 v6, v0
	s_branch .LBB38_19
.LBB38_18:                              ;   in Loop: Header=BB38_19 Depth=2
	v_add_u32_e32 v9, v6, v11
	v_ashrrev_i32_e32 v10, 31, v9
	v_lshlrev_b64 v[9:10], 3, v[9:10]
	v_mov_b32_e32 v18, s9
	v_add_co_u32_e32 v9, vcc, s8, v9
	v_addc_co_u32_e32 v10, vcc, v18, v10, vcc
	global_load_dwordx2 v[18:19], v[9:10], off
	v_add_u32_e32 v6, 64, v6
	v_cmp_le_i32_e32 vcc, s33, v6
	s_or_b64 s[28:29], vcc, s[28:29]
	v_add_u32_e32 v17, s34, v17
	s_waitcnt vmcnt(0)
	v_add_f64 v[7:8], v[18:19], -v[7:8]
	global_store_dwordx2 v[9:10], v[7:8], off
	s_andn2_b64 exec, exec, s[28:29]
	s_cbranch_execz .LBB38_8
.LBB38_19:                              ;   Parent Loop BB38_10 Depth=1
                                        ; =>  This Loop Header: Depth=2
                                        ;       Child Loop BB38_21 Depth 3
	v_mov_b32_e32 v7, 0
	v_mov_b32_e32 v8, 0
	s_mov_b32 s3, 0
	s_branch .LBB38_21
.LBB38_20:                              ;   in Loop: Header=BB38_21 Depth=3
	v_ashrrev_i32_e32 v10, 31, v9
	v_lshlrev_b64 v[9:10], 3, v[9:10]
	v_mov_b32_e32 v18, s7
	v_add_co_u32_e32 v9, vcc, s6, v9
	v_addc_co_u32_e32 v10, vcc, v18, v10, vcc
	v_add_u32_e32 v18, s3, v16
	v_ashrrev_i32_e32 v19, 31, v18
	v_lshlrev_b64 v[18:19], 3, v[18:19]
	v_mov_b32_e32 v20, s9
	v_add_co_u32_e32 v18, vcc, s8, v18
	v_addc_co_u32_e32 v19, vcc, v20, v19, vcc
	global_load_dwordx2 v[9:10], v[9:10], off
	s_add_i32 s3, s3, 1
	global_load_dwordx2 v[18:19], v[18:19], off
	s_cmp_eq_u32 s33, s3
	s_waitcnt vmcnt(0)
	v_fma_f64 v[7:8], v[9:10], v[18:19], v[7:8]
	s_cbranch_scc1 .LBB38_18
.LBB38_21:                              ;   Parent Loop BB38_10 Depth=1
                                        ;     Parent Loop BB38_19 Depth=2
                                        ; =>    This Inner Loop Header: Depth=3
	s_and_b64 vcc, exec, s[12:13]
	s_cbranch_vccz .LBB38_23
; %bb.22:                               ;   in Loop: Header=BB38_21 Depth=3
	v_add_u32_e32 v9, s3, v15
	v_mad_u64_u32 v[9:10], s[30:31], v9, s33, v[6:7]
	s_cbranch_execnz .LBB38_20
	s_branch .LBB38_24
.LBB38_23:                              ;   in Loop: Header=BB38_21 Depth=3
                                        ; implicit-def: $vgpr9
.LBB38_24:                              ;   in Loop: Header=BB38_21 Depth=3
	v_add_u32_e32 v9, s3, v17
	s_branch .LBB38_20
.LBB38_25:
	s_or_b64 exec, exec, s[20:21]
.LBB38_26:
	s_or_b64 exec, exec, s[4:5]
	s_cmp_gt_i32 s33, 0
	v_cmp_eq_u32_e32 vcc, v5, v1
	s_cselect_b64 s[0:1], -1, 0
	s_mov_b32 s22, 0
	s_and_b64 s[4:5], s[0:1], vcc
	s_mov_b64 s[0:1], 0
	s_and_saveexec_b64 s[2:3], s[4:5]
	s_cbranch_execz .LBB38_39
; %bb.27:
	v_mul_lo_u32 v10, v4, s33
	s_cmp_eq_u32 s17, 0
	s_cselect_b64 s[0:1], -1, 0
	s_cmp_lg_u32 s18, 0
	v_add_u32_e32 v4, v10, v0
	v_mul_lo_u32 v4, s33, v4
	s_cselect_b64 s[4:5], -1, 0
	s_add_i32 s17, s33, 1
	s_lshl_b32 s23, s33, 6
	v_add_u32_e32 v12, s33, v4
	v_cndmask_b32_e64 v4, 0, 1, s[0:1]
	s_mov_b64 s[18:19], 0
	v_cmp_ne_u32_e64 s[0:1], 1, v4
	v_mov_b32_e32 v13, s9
                                        ; implicit-def: $sgpr12_sgpr13
	v_mov_b32_e32 v6, 0
	v_mov_b32_e32 v7, 0x3ff00000
	s_and_b64 vcc, exec, s[0:1]
	s_cbranch_vccnz .LBB38_29
.LBB38_28:
	s_waitcnt vmcnt(0)
	v_add_u32_e32 v4, s22, v10
	v_mul_lo_u32 v4, v4, s33
	v_mov_b32_e32 v6, s7
	v_add_u32_e32 v4, s22, v4
	v_ashrrev_i32_e32 v5, 31, v4
	v_lshlrev_b64 v[4:5], 3, v[4:5]
	v_add_co_u32_e32 v4, vcc, s6, v4
	v_addc_co_u32_e32 v5, vcc, v6, v5, vcc
	global_load_dwordx2 v[6:7], v[4:5], off
.LBB38_29:                              ; =>This Loop Header: Depth=1
                                        ;     Child Loop BB38_34 Depth 2
	s_waitcnt vmcnt(0)
	v_add_u32_e32 v4, s22, v11
	v_ashrrev_i32_e32 v5, 31, v4
	v_lshlrev_b64 v[4:5], 3, v[4:5]
	s_or_b64 s[12:13], s[12:13], exec
	v_add_co_u32_e32 v8, vcc, s8, v4
	v_addc_co_u32_e32 v9, vcc, v13, v5, vcc
	global_load_dwordx2 v[4:5], v[8:9], off
	s_waitcnt vmcnt(1)
	v_cmp_neq_f64_e32 vcc, 0, v[6:7]
	s_and_saveexec_b64 s[20:21], vcc
	s_cbranch_execz .LBB38_31
; %bb.30:                               ;   in Loop: Header=BB38_29 Depth=1
	s_waitcnt vmcnt(0)
	v_div_scale_f64 v[14:15], s[24:25], v[6:7], v[6:7], v[4:5]
	s_andn2_b64 s[12:13], s[12:13], exec
	s_and_b64 s[18:19], s[18:19], exec
	s_or_b64 s[12:13], s[12:13], s[18:19]
	v_rcp_f64_e32 v[16:17], v[14:15]
	v_fma_f64 v[18:19], -v[14:15], v[16:17], 1.0
	v_fma_f64 v[16:17], v[16:17], v[18:19], v[16:17]
	v_div_scale_f64 v[18:19], vcc, v[4:5], v[6:7], v[4:5]
	v_fma_f64 v[20:21], -v[14:15], v[16:17], 1.0
	v_fma_f64 v[16:17], v[16:17], v[20:21], v[16:17]
	v_mul_f64 v[20:21], v[18:19], v[16:17]
	v_fma_f64 v[14:15], -v[14:15], v[20:21], v[18:19]
	v_div_fmas_f64 v[14:15], v[14:15], v[16:17], v[20:21]
	v_div_fixup_f64 v[4:5], v[14:15], v[6:7], v[4:5]
	global_store_dwordx2 v[8:9], v[4:5], off
.LBB38_31:                              ;   in Loop: Header=BB38_29 Depth=1
	s_or_b64 exec, exec, s[20:21]
	v_add_u32_e32 v6, 1, v0
	v_add_u32_e32 v8, s22, v6
	v_cmp_gt_i32_e32 vcc, s33, v8
	s_and_saveexec_b64 s[18:19], vcc
	s_cbranch_execz .LBB38_36
; %bb.32:                               ;   in Loop: Header=BB38_29 Depth=1
	v_add_u32_e32 v6, s22, v10
	v_mul_lo_u32 v9, v6, s33
	s_mov_b64 s[20:21], 0
	v_mov_b32_e32 v14, v12
	s_branch .LBB38_34
.LBB38_33:                              ;   in Loop: Header=BB38_34 Depth=2
	v_ashrrev_i32_e32 v7, 31, v6
	v_lshlrev_b64 v[6:7], 3, v[6:7]
	v_mov_b32_e32 v15, s7
	v_add_co_u32_e32 v6, vcc, s6, v6
	v_addc_co_u32_e32 v7, vcc, v15, v7, vcc
	v_add_u32_e32 v15, v11, v8
	v_ashrrev_i32_e32 v16, 31, v15
	v_lshlrev_b64 v[15:16], 3, v[15:16]
	v_mov_b32_e32 v17, s9
	v_add_co_u32_e32 v15, vcc, s8, v15
	v_addc_co_u32_e32 v16, vcc, v17, v16, vcc
	global_load_dwordx2 v[6:7], v[6:7], off
	v_add_u32_e32 v8, 64, v8
	global_load_dwordx2 v[17:18], v[15:16], off
	v_cmp_le_i32_e32 vcc, s33, v8
	s_or_b64 s[20:21], vcc, s[20:21]
	v_add_u32_e32 v14, s23, v14
	s_waitcnt vmcnt(0)
	v_fma_f64 v[6:7], -v[4:5], v[6:7], v[17:18]
	global_store_dwordx2 v[15:16], v[6:7], off
	s_andn2_b64 exec, exec, s[20:21]
	s_cbranch_execz .LBB38_36
.LBB38_34:                              ;   Parent Loop BB38_29 Depth=1
                                        ; =>  This Inner Loop Header: Depth=2
	s_andn2_b64 vcc, exec, s[4:5]
	v_mov_b32_e32 v6, v14
	s_cbranch_vccnz .LBB38_33
; %bb.35:                               ;   in Loop: Header=BB38_34 Depth=2
	v_add_u32_e32 v6, v8, v9
	s_branch .LBB38_33
.LBB38_36:                              ;   in Loop: Header=BB38_29 Depth=1
	s_or_b64 exec, exec, s[18:19]
	s_add_i32 s22, s22, 1
	s_cmp_eq_u32 s22, s33
	v_add_u32_e32 v12, s17, v12
	s_cbranch_scc1 .LBB38_38
; %bb.37:                               ;   in Loop: Header=BB38_29 Depth=1
	s_mov_b64 s[18:19], s[12:13]
	v_mov_b32_e32 v6, 0
	v_mov_b32_e32 v7, 0x3ff00000
	s_and_b64 vcc, exec, s[0:1]
	s_cbranch_vccnz .LBB38_29
	s_branch .LBB38_28
.LBB38_38:
	s_and_b64 s[0:1], s[12:13], exec
.LBB38_39:
	s_or_b64 exec, exec, s[2:3]
	v_cmp_eq_u32_e32 vcc, 0, v0
	s_and_b64 exec, exec, vcc
	s_cbranch_execz .LBB38_45
; %bb.40:
	v_mov_b32_e32 v0, s11
	v_add_co_u32_e32 v2, vcc, s10, v2
	v_addc_co_u32_e32 v3, vcc, v0, v3, vcc
	v_mov_b32_e32 v0, 1
	s_waitcnt vmcnt(0)
	global_store_dword v[2:3], v0, off
	s_and_b64 exec, exec, s[0:1]
	s_cbranch_execz .LBB38_45
; %bb.41:
	s_mov_b64 s[0:1], exec
	v_add_u32_e32 v0, s16, v1
	s_brev_b32 s2, -2
.LBB38_42:                              ; =>This Inner Loop Header: Depth=1
	s_ff1_i32_b64 s3, s[0:1]
	v_readlane_b32 s6, v0, s3
	s_lshl_b64 s[4:5], 1, s3
	s_min_i32 s2, s2, s6
	s_andn2_b64 s[0:1], s[0:1], s[4:5]
	s_cmp_lg_u64 s[0:1], 0
	s_cbranch_scc1 .LBB38_42
; %bb.43:
	v_mbcnt_lo_u32_b32 v0, exec_lo, 0
	v_mbcnt_hi_u32_b32 v0, exec_hi, v0
	v_cmp_eq_u32_e32 vcc, 0, v0
	s_and_saveexec_b64 s[0:1], vcc
	s_xor_b64 s[0:1], exec, s[0:1]
	s_cbranch_execz .LBB38_45
; %bb.44:
	v_mov_b32_e32 v0, 0
	v_mov_b32_e32 v1, s2
	global_atomic_smin v0, v1, s[14:15]
.LBB38_45:
	s_endpgm
	.section	.rodata,"a",@progbits
	.p2align	6, 0x0
	.amdhsa_kernel _ZN9rocsparseL19bsrsv_lower_generalILj128ELj64ELb1EdEEviNS_24const_host_device_scalarIT2_EEPKiS5_PKS2_iS7_PS2_PiS9_S9_21rocsparse_index_base_20rocsparse_diag_type_20rocsparse_direction_b
		.amdhsa_group_segment_fixed_size 0
		.amdhsa_private_segment_fixed_size 0
		.amdhsa_kernarg_size 104
		.amdhsa_user_sgpr_count 6
		.amdhsa_user_sgpr_private_segment_buffer 1
		.amdhsa_user_sgpr_dispatch_ptr 0
		.amdhsa_user_sgpr_queue_ptr 0
		.amdhsa_user_sgpr_kernarg_segment_ptr 1
		.amdhsa_user_sgpr_dispatch_id 0
		.amdhsa_user_sgpr_flat_scratch_init 0
		.amdhsa_user_sgpr_private_segment_size 0
		.amdhsa_uses_dynamic_stack 0
		.amdhsa_system_sgpr_private_segment_wavefront_offset 0
		.amdhsa_system_sgpr_workgroup_id_x 1
		.amdhsa_system_sgpr_workgroup_id_y 0
		.amdhsa_system_sgpr_workgroup_id_z 0
		.amdhsa_system_sgpr_workgroup_info 0
		.amdhsa_system_vgpr_workitem_id 0
		.amdhsa_next_free_vgpr 22
		.amdhsa_next_free_sgpr 35
		.amdhsa_reserve_vcc 1
		.amdhsa_reserve_flat_scratch 0
		.amdhsa_float_round_mode_32 0
		.amdhsa_float_round_mode_16_64 0
		.amdhsa_float_denorm_mode_32 3
		.amdhsa_float_denorm_mode_16_64 3
		.amdhsa_dx10_clamp 1
		.amdhsa_ieee_mode 1
		.amdhsa_fp16_overflow 0
		.amdhsa_exception_fp_ieee_invalid_op 0
		.amdhsa_exception_fp_denorm_src 0
		.amdhsa_exception_fp_ieee_div_zero 0
		.amdhsa_exception_fp_ieee_overflow 0
		.amdhsa_exception_fp_ieee_underflow 0
		.amdhsa_exception_fp_ieee_inexact 0
		.amdhsa_exception_int_div_zero 0
	.end_amdhsa_kernel
	.section	.text._ZN9rocsparseL19bsrsv_lower_generalILj128ELj64ELb1EdEEviNS_24const_host_device_scalarIT2_EEPKiS5_PKS2_iS7_PS2_PiS9_S9_21rocsparse_index_base_20rocsparse_diag_type_20rocsparse_direction_b,"axG",@progbits,_ZN9rocsparseL19bsrsv_lower_generalILj128ELj64ELb1EdEEviNS_24const_host_device_scalarIT2_EEPKiS5_PKS2_iS7_PS2_PiS9_S9_21rocsparse_index_base_20rocsparse_diag_type_20rocsparse_direction_b,comdat
.Lfunc_end38:
	.size	_ZN9rocsparseL19bsrsv_lower_generalILj128ELj64ELb1EdEEviNS_24const_host_device_scalarIT2_EEPKiS5_PKS2_iS7_PS2_PiS9_S9_21rocsparse_index_base_20rocsparse_diag_type_20rocsparse_direction_b, .Lfunc_end38-_ZN9rocsparseL19bsrsv_lower_generalILj128ELj64ELb1EdEEviNS_24const_host_device_scalarIT2_EEPKiS5_PKS2_iS7_PS2_PiS9_S9_21rocsparse_index_base_20rocsparse_diag_type_20rocsparse_direction_b
                                        ; -- End function
	.set _ZN9rocsparseL19bsrsv_lower_generalILj128ELj64ELb1EdEEviNS_24const_host_device_scalarIT2_EEPKiS5_PKS2_iS7_PS2_PiS9_S9_21rocsparse_index_base_20rocsparse_diag_type_20rocsparse_direction_b.num_vgpr, 22
	.set _ZN9rocsparseL19bsrsv_lower_generalILj128ELj64ELb1EdEEviNS_24const_host_device_scalarIT2_EEPKiS5_PKS2_iS7_PS2_PiS9_S9_21rocsparse_index_base_20rocsparse_diag_type_20rocsparse_direction_b.num_agpr, 0
	.set _ZN9rocsparseL19bsrsv_lower_generalILj128ELj64ELb1EdEEviNS_24const_host_device_scalarIT2_EEPKiS5_PKS2_iS7_PS2_PiS9_S9_21rocsparse_index_base_20rocsparse_diag_type_20rocsparse_direction_b.numbered_sgpr, 35
	.set _ZN9rocsparseL19bsrsv_lower_generalILj128ELj64ELb1EdEEviNS_24const_host_device_scalarIT2_EEPKiS5_PKS2_iS7_PS2_PiS9_S9_21rocsparse_index_base_20rocsparse_diag_type_20rocsparse_direction_b.num_named_barrier, 0
	.set _ZN9rocsparseL19bsrsv_lower_generalILj128ELj64ELb1EdEEviNS_24const_host_device_scalarIT2_EEPKiS5_PKS2_iS7_PS2_PiS9_S9_21rocsparse_index_base_20rocsparse_diag_type_20rocsparse_direction_b.private_seg_size, 0
	.set _ZN9rocsparseL19bsrsv_lower_generalILj128ELj64ELb1EdEEviNS_24const_host_device_scalarIT2_EEPKiS5_PKS2_iS7_PS2_PiS9_S9_21rocsparse_index_base_20rocsparse_diag_type_20rocsparse_direction_b.uses_vcc, 1
	.set _ZN9rocsparseL19bsrsv_lower_generalILj128ELj64ELb1EdEEviNS_24const_host_device_scalarIT2_EEPKiS5_PKS2_iS7_PS2_PiS9_S9_21rocsparse_index_base_20rocsparse_diag_type_20rocsparse_direction_b.uses_flat_scratch, 0
	.set _ZN9rocsparseL19bsrsv_lower_generalILj128ELj64ELb1EdEEviNS_24const_host_device_scalarIT2_EEPKiS5_PKS2_iS7_PS2_PiS9_S9_21rocsparse_index_base_20rocsparse_diag_type_20rocsparse_direction_b.has_dyn_sized_stack, 0
	.set _ZN9rocsparseL19bsrsv_lower_generalILj128ELj64ELb1EdEEviNS_24const_host_device_scalarIT2_EEPKiS5_PKS2_iS7_PS2_PiS9_S9_21rocsparse_index_base_20rocsparse_diag_type_20rocsparse_direction_b.has_recursion, 0
	.set _ZN9rocsparseL19bsrsv_lower_generalILj128ELj64ELb1EdEEviNS_24const_host_device_scalarIT2_EEPKiS5_PKS2_iS7_PS2_PiS9_S9_21rocsparse_index_base_20rocsparse_diag_type_20rocsparse_direction_b.has_indirect_call, 0
	.section	.AMDGPU.csdata,"",@progbits
; Kernel info:
; codeLenInByte = 1672
; TotalNumSgprs: 39
; NumVgprs: 22
; ScratchSize: 0
; MemoryBound: 0
; FloatMode: 240
; IeeeMode: 1
; LDSByteSize: 0 bytes/workgroup (compile time only)
; SGPRBlocks: 4
; VGPRBlocks: 5
; NumSGPRsForWavesPerEU: 39
; NumVGPRsForWavesPerEU: 22
; Occupancy: 10
; WaveLimiterHint : 1
; COMPUTE_PGM_RSRC2:SCRATCH_EN: 0
; COMPUTE_PGM_RSRC2:USER_SGPR: 6
; COMPUTE_PGM_RSRC2:TRAP_HANDLER: 0
; COMPUTE_PGM_RSRC2:TGID_X_EN: 1
; COMPUTE_PGM_RSRC2:TGID_Y_EN: 0
; COMPUTE_PGM_RSRC2:TGID_Z_EN: 0
; COMPUTE_PGM_RSRC2:TIDIG_COMP_CNT: 0
	.section	.text._ZN9rocsparseL19bsrsv_lower_generalILj128ELj64ELb0EdEEviNS_24const_host_device_scalarIT2_EEPKiS5_PKS2_iS7_PS2_PiS9_S9_21rocsparse_index_base_20rocsparse_diag_type_20rocsparse_direction_b,"axG",@progbits,_ZN9rocsparseL19bsrsv_lower_generalILj128ELj64ELb0EdEEviNS_24const_host_device_scalarIT2_EEPKiS5_PKS2_iS7_PS2_PiS9_S9_21rocsparse_index_base_20rocsparse_diag_type_20rocsparse_direction_b,comdat
	.globl	_ZN9rocsparseL19bsrsv_lower_generalILj128ELj64ELb0EdEEviNS_24const_host_device_scalarIT2_EEPKiS5_PKS2_iS7_PS2_PiS9_S9_21rocsparse_index_base_20rocsparse_diag_type_20rocsparse_direction_b ; -- Begin function _ZN9rocsparseL19bsrsv_lower_generalILj128ELj64ELb0EdEEviNS_24const_host_device_scalarIT2_EEPKiS5_PKS2_iS7_PS2_PiS9_S9_21rocsparse_index_base_20rocsparse_diag_type_20rocsparse_direction_b
	.p2align	8
	.type	_ZN9rocsparseL19bsrsv_lower_generalILj128ELj64ELb0EdEEviNS_24const_host_device_scalarIT2_EEPKiS5_PKS2_iS7_PS2_PiS9_S9_21rocsparse_index_base_20rocsparse_diag_type_20rocsparse_direction_b,@function
_ZN9rocsparseL19bsrsv_lower_generalILj128ELj64ELb0EdEEviNS_24const_host_device_scalarIT2_EEPKiS5_PKS2_iS7_PS2_PiS9_S9_21rocsparse_index_base_20rocsparse_diag_type_20rocsparse_direction_b: ; @_ZN9rocsparseL19bsrsv_lower_generalILj128ELj64ELb0EdEEviNS_24const_host_device_scalarIT2_EEPKiS5_PKS2_iS7_PS2_PiS9_S9_21rocsparse_index_base_20rocsparse_diag_type_20rocsparse_direction_b
; %bb.0:
	s_load_dwordx4 s[16:19], s[4:5], 0x58
	s_load_dwordx2 s[0:1], s[4:5], 0x8
	s_waitcnt lgkmcnt(0)
	s_bitcmp1_b32 s19, 0
	s_cselect_b64 s[2:3], -1, 0
	v_mov_b32_e32 v5, s1
	s_and_b64 vcc, exec, s[2:3]
	v_mov_b32_e32 v4, s0
	s_cbranch_vccnz .LBB39_2
; %bb.1:
	v_mov_b32_e32 v2, s1
	v_mov_b32_e32 v1, s0
	flat_load_dwordx2 v[4:5], v[1:2]
.LBB39_2:
	s_load_dword s19, s[4:5], 0x0
	s_lshl_b32 s0, s6, 1
	v_lshrrev_b32_e32 v1, 6, v0
	s_and_b32 s0, s0, 0x3fffffe
	v_or_b32_e32 v1, s0, v1
	s_waitcnt lgkmcnt(0)
	v_cmp_gt_i32_e32 vcc, s19, v1
	s_and_saveexec_b64 s[0:1], vcc
	s_cbranch_execz .LBB39_43
; %bb.3:
	s_load_dwordx8 s[8:15], s[4:5], 0x38
	v_lshlrev_b32_e32 v1, 2, v1
	s_load_dword s33, s[4:5], 0x28
	v_and_b32_e32 v0, 63, v0
	s_waitcnt lgkmcnt(0)
	global_load_dword v1, v1, s[12:13]
	s_load_dwordx4 s[0:3], s[4:5], 0x10
	s_load_dwordx2 s[6:7], s[4:5], 0x20
	s_waitcnt lgkmcnt(0)
	v_mov_b32_e32 v7, s1
	s_waitcnt vmcnt(0)
	v_ashrrev_i32_e32 v2, 31, v1
	v_lshlrev_b64 v[2:3], 2, v[1:2]
	v_add_co_u32_e32 v6, vcc, s0, v2
	v_addc_co_u32_e32 v7, vcc, v7, v3, vcc
	global_load_dwordx2 v[6:7], v[6:7], off
	v_cmp_gt_i32_e64 s[0:1], s33, v0
	s_and_saveexec_b64 s[12:13], s[0:1]
	s_cbranch_execz .LBB39_6
; %bb.4:
	v_mad_u64_u32 v[8:9], s[20:21], v1, s33, v[0:1]
	s_load_dwordx2 s[4:5], s[4:5], 0x30
	v_mov_b32_e32 v12, s9
	v_ashrrev_i32_e32 v9, 31, v8
	v_lshlrev_b64 v[10:11], 3, v[8:9]
	s_waitcnt lgkmcnt(0)
	v_mov_b32_e32 v9, s5
	v_add_co_u32_e32 v8, vcc, s4, v10
	v_addc_co_u32_e32 v9, vcc, v9, v11, vcc
	v_add_co_u32_e32 v10, vcc, s8, v10
	v_addc_co_u32_e32 v11, vcc, v12, v11, vcc
	s_mov_b64 s[4:5], 0
	v_mov_b32_e32 v12, v0
.LBB39_5:                               ; =>This Inner Loop Header: Depth=1
	global_load_dwordx2 v[13:14], v[8:9], off
	v_add_co_u32_e32 v8, vcc, 0x200, v8
	v_add_u32_e32 v12, 64, v12
	v_addc_co_u32_e32 v9, vcc, 0, v9, vcc
	v_cmp_le_i32_e32 vcc, s33, v12
	s_or_b64 s[4:5], vcc, s[4:5]
	s_waitcnt vmcnt(0)
	v_mul_f64 v[13:14], v[4:5], v[13:14]
	global_store_dwordx2 v[10:11], v[13:14], off
	v_add_co_u32_e32 v10, vcc, 0x200, v10
	v_addc_co_u32_e32 v11, vcc, 0, v11, vcc
	s_andn2_b64 exec, exec, s[4:5]
	s_cbranch_execnz .LBB39_5
.LBB39_6:
	s_or_b64 exec, exec, s[12:13]
	v_mul_lo_u32 v11, v1, s33
	s_waitcnt vmcnt(0)
	v_subrev_u32_e32 v4, s16, v6
	v_cmp_lt_i32_e32 vcc, v6, v7
	v_mov_b32_e32 v5, s19
	s_and_saveexec_b64 s[4:5], vcc
	s_cbranch_execz .LBB39_24
; %bb.7:
	v_mad_u64_u32 v[5:6], s[12:13], s33, v4, v[0:1]
	s_cmp_lg_u32 s18, 0
	v_subrev_u32_e32 v12, s16, v7
	v_mul_lo_u32 v13, s33, v5
	s_cselect_b64 s[12:13], -1, 0
	s_mul_i32 s19, s33, s33
	s_lshl_b32 s34, s33, 6
	s_mov_b64 s[20:21], 0
	v_mov_b32_e32 v14, s3
                                        ; implicit-def: $sgpr22_sgpr23
	s_branch .LBB39_10
.LBB39_8:                               ;   in Loop: Header=BB39_10 Depth=1
	s_or_b64 exec, exec, s[26:27]
	v_add_u32_e32 v4, 1, v4
	v_cmp_ge_i32_e32 vcc, v4, v12
	s_andn2_b64 s[22:23], s[22:23], exec
	s_and_b64 s[26:27], vcc, exec
	v_add_u32_e32 v13, s19, v13
	s_or_b64 s[22:23], s[22:23], s[26:27]
.LBB39_9:                               ;   in Loop: Header=BB39_10 Depth=1
	s_or_b64 exec, exec, s[24:25]
	s_and_b64 s[24:25], exec, s[22:23]
	s_or_b64 s[20:21], s[24:25], s[20:21]
	s_andn2_b64 exec, exec, s[20:21]
	s_cbranch_execz .LBB39_23
.LBB39_10:                              ; =>This Loop Header: Depth=1
                                        ;     Child Loop BB39_13 Depth 2
                                        ;     Child Loop BB39_17 Depth 2
                                        ;       Child Loop BB39_19 Depth 3
	v_ashrrev_i32_e32 v5, 31, v4
	v_lshlrev_b64 v[5:6], 2, v[4:5]
	s_or_b64 s[22:23], s[22:23], exec
	v_add_co_u32_e32 v5, vcc, s2, v5
	v_addc_co_u32_e32 v6, vcc, v14, v6, vcc
	global_load_dword v5, v[5:6], off
	s_waitcnt vmcnt(0)
	v_subrev_u32_e32 v5, s16, v5
	v_cmp_lt_i32_e32 vcc, v5, v1
	s_and_saveexec_b64 s[24:25], vcc
	s_cbranch_execz .LBB39_9
; %bb.11:                               ;   in Loop: Header=BB39_10 Depth=1
	v_ashrrev_i32_e32 v6, 31, v5
	v_lshlrev_b64 v[6:7], 2, v[5:6]
	v_mov_b32_e32 v8, s11
	v_add_co_u32_e32 v6, vcc, s10, v6
	v_addc_co_u32_e32 v7, vcc, v8, v7, vcc
	global_load_dword v8, v[6:7], off glc
	s_waitcnt vmcnt(0)
	v_cmp_eq_u32_e32 vcc, 0, v8
	s_and_saveexec_b64 s[26:27], vcc
	s_cbranch_execz .LBB39_14
; %bb.12:                               ;   in Loop: Header=BB39_10 Depth=1
	s_mov_b64 s[28:29], 0
.LBB39_13:                              ;   Parent Loop BB39_10 Depth=1
                                        ; =>  This Inner Loop Header: Depth=2
	global_load_dword v8, v[6:7], off glc
	s_waitcnt vmcnt(0)
	v_cmp_ne_u32_e32 vcc, 0, v8
	s_or_b64 s[28:29], vcc, s[28:29]
	s_andn2_b64 exec, exec, s[28:29]
	s_cbranch_execnz .LBB39_13
.LBB39_14:                              ;   in Loop: Header=BB39_10 Depth=1
	s_or_b64 exec, exec, s[26:27]
	buffer_wbinvl1_vol
	s_and_saveexec_b64 s[26:27], s[0:1]
	s_cbranch_execz .LBB39_8
; %bb.15:                               ;   in Loop: Header=BB39_10 Depth=1
	v_mul_lo_u32 v15, v4, s33
	v_mul_lo_u32 v16, v5, s33
	s_mov_b64 s[28:29], 0
	v_mov_b32_e32 v17, v13
	v_mov_b32_e32 v6, v0
	s_branch .LBB39_17
.LBB39_16:                              ;   in Loop: Header=BB39_17 Depth=2
	v_add_u32_e32 v9, v6, v11
	v_ashrrev_i32_e32 v10, 31, v9
	v_lshlrev_b64 v[9:10], 3, v[9:10]
	v_mov_b32_e32 v18, s9
	v_add_co_u32_e32 v9, vcc, s8, v9
	v_addc_co_u32_e32 v10, vcc, v18, v10, vcc
	global_load_dwordx2 v[18:19], v[9:10], off
	v_add_u32_e32 v6, 64, v6
	v_cmp_le_i32_e32 vcc, s33, v6
	s_or_b64 s[28:29], vcc, s[28:29]
	v_add_u32_e32 v17, s34, v17
	s_waitcnt vmcnt(0)
	v_add_f64 v[7:8], v[18:19], -v[7:8]
	global_store_dwordx2 v[9:10], v[7:8], off
	s_andn2_b64 exec, exec, s[28:29]
	s_cbranch_execz .LBB39_8
.LBB39_17:                              ;   Parent Loop BB39_10 Depth=1
                                        ; =>  This Loop Header: Depth=2
                                        ;       Child Loop BB39_19 Depth 3
	v_mov_b32_e32 v7, 0
	v_mov_b32_e32 v8, 0
	s_mov_b32 s3, 0
	s_branch .LBB39_19
.LBB39_18:                              ;   in Loop: Header=BB39_19 Depth=3
	v_ashrrev_i32_e32 v10, 31, v9
	v_lshlrev_b64 v[9:10], 3, v[9:10]
	v_mov_b32_e32 v18, s7
	v_add_co_u32_e32 v9, vcc, s6, v9
	v_addc_co_u32_e32 v10, vcc, v18, v10, vcc
	v_add_u32_e32 v18, s3, v16
	v_ashrrev_i32_e32 v19, 31, v18
	v_lshlrev_b64 v[18:19], 3, v[18:19]
	v_mov_b32_e32 v20, s9
	v_add_co_u32_e32 v18, vcc, s8, v18
	v_addc_co_u32_e32 v19, vcc, v20, v19, vcc
	global_load_dwordx2 v[9:10], v[9:10], off
	s_add_i32 s3, s3, 1
	global_load_dwordx2 v[18:19], v[18:19], off
	s_cmp_eq_u32 s33, s3
	s_waitcnt vmcnt(0)
	v_fma_f64 v[7:8], v[9:10], v[18:19], v[7:8]
	s_cbranch_scc1 .LBB39_16
.LBB39_19:                              ;   Parent Loop BB39_10 Depth=1
                                        ;     Parent Loop BB39_17 Depth=2
                                        ; =>    This Inner Loop Header: Depth=3
	s_and_b64 vcc, exec, s[12:13]
	s_cbranch_vccz .LBB39_21
; %bb.20:                               ;   in Loop: Header=BB39_19 Depth=3
	v_add_u32_e32 v9, s3, v15
	v_mad_u64_u32 v[9:10], s[30:31], v9, s33, v[6:7]
	s_cbranch_execnz .LBB39_18
	s_branch .LBB39_22
.LBB39_21:                              ;   in Loop: Header=BB39_19 Depth=3
                                        ; implicit-def: $vgpr9
.LBB39_22:                              ;   in Loop: Header=BB39_19 Depth=3
	v_add_u32_e32 v9, s3, v17
	s_branch .LBB39_18
.LBB39_23:
	s_or_b64 exec, exec, s[20:21]
.LBB39_24:
	s_or_b64 exec, exec, s[4:5]
	s_cmp_gt_i32 s33, 0
	v_cmp_eq_u32_e32 vcc, v5, v1
	s_cselect_b64 s[0:1], -1, 0
	s_mov_b32 s22, 0
	s_and_b64 s[4:5], s[0:1], vcc
	s_mov_b64 s[0:1], 0
	s_and_saveexec_b64 s[2:3], s[4:5]
	s_cbranch_execz .LBB39_37
; %bb.25:
	v_mul_lo_u32 v10, v4, s33
	s_cmp_eq_u32 s17, 0
	s_cselect_b64 s[0:1], -1, 0
	s_cmp_lg_u32 s18, 0
	v_add_u32_e32 v4, v10, v0
	v_mul_lo_u32 v4, s33, v4
	s_cselect_b64 s[4:5], -1, 0
	s_add_i32 s17, s33, 1
	s_lshl_b32 s23, s33, 6
	v_add_u32_e32 v12, s33, v4
	v_cndmask_b32_e64 v4, 0, 1, s[0:1]
	s_mov_b64 s[18:19], 0
	v_cmp_ne_u32_e64 s[0:1], 1, v4
	v_mov_b32_e32 v13, s9
                                        ; implicit-def: $sgpr12_sgpr13
	v_mov_b32_e32 v6, 0
	v_mov_b32_e32 v7, 0x3ff00000
	s_and_b64 vcc, exec, s[0:1]
	s_cbranch_vccnz .LBB39_27
.LBB39_26:
	s_waitcnt vmcnt(0)
	v_add_u32_e32 v4, s22, v10
	v_mul_lo_u32 v4, v4, s33
	v_mov_b32_e32 v6, s7
	v_add_u32_e32 v4, s22, v4
	v_ashrrev_i32_e32 v5, 31, v4
	v_lshlrev_b64 v[4:5], 3, v[4:5]
	v_add_co_u32_e32 v4, vcc, s6, v4
	v_addc_co_u32_e32 v5, vcc, v6, v5, vcc
	global_load_dwordx2 v[6:7], v[4:5], off
.LBB39_27:                              ; =>This Loop Header: Depth=1
                                        ;     Child Loop BB39_32 Depth 2
	s_waitcnt vmcnt(0)
	v_add_u32_e32 v4, s22, v11
	v_ashrrev_i32_e32 v5, 31, v4
	v_lshlrev_b64 v[4:5], 3, v[4:5]
	s_or_b64 s[12:13], s[12:13], exec
	v_add_co_u32_e32 v8, vcc, s8, v4
	v_addc_co_u32_e32 v9, vcc, v13, v5, vcc
	global_load_dwordx2 v[4:5], v[8:9], off
	s_waitcnt vmcnt(1)
	v_cmp_neq_f64_e32 vcc, 0, v[6:7]
	s_and_saveexec_b64 s[20:21], vcc
	s_cbranch_execz .LBB39_29
; %bb.28:                               ;   in Loop: Header=BB39_27 Depth=1
	s_waitcnt vmcnt(0)
	v_div_scale_f64 v[14:15], s[24:25], v[6:7], v[6:7], v[4:5]
	s_andn2_b64 s[12:13], s[12:13], exec
	s_and_b64 s[18:19], s[18:19], exec
	s_or_b64 s[12:13], s[12:13], s[18:19]
	v_rcp_f64_e32 v[16:17], v[14:15]
	v_fma_f64 v[18:19], -v[14:15], v[16:17], 1.0
	v_fma_f64 v[16:17], v[16:17], v[18:19], v[16:17]
	v_div_scale_f64 v[18:19], vcc, v[4:5], v[6:7], v[4:5]
	v_fma_f64 v[20:21], -v[14:15], v[16:17], 1.0
	v_fma_f64 v[16:17], v[16:17], v[20:21], v[16:17]
	v_mul_f64 v[20:21], v[18:19], v[16:17]
	v_fma_f64 v[14:15], -v[14:15], v[20:21], v[18:19]
	v_div_fmas_f64 v[14:15], v[14:15], v[16:17], v[20:21]
	v_div_fixup_f64 v[4:5], v[14:15], v[6:7], v[4:5]
	global_store_dwordx2 v[8:9], v[4:5], off
.LBB39_29:                              ;   in Loop: Header=BB39_27 Depth=1
	s_or_b64 exec, exec, s[20:21]
	v_add_u32_e32 v6, 1, v0
	v_add_u32_e32 v8, s22, v6
	v_cmp_gt_i32_e32 vcc, s33, v8
	s_and_saveexec_b64 s[18:19], vcc
	s_cbranch_execz .LBB39_34
; %bb.30:                               ;   in Loop: Header=BB39_27 Depth=1
	v_add_u32_e32 v6, s22, v10
	v_mul_lo_u32 v9, v6, s33
	s_mov_b64 s[20:21], 0
	v_mov_b32_e32 v14, v12
	s_branch .LBB39_32
.LBB39_31:                              ;   in Loop: Header=BB39_32 Depth=2
	v_ashrrev_i32_e32 v7, 31, v6
	v_lshlrev_b64 v[6:7], 3, v[6:7]
	v_mov_b32_e32 v15, s7
	v_add_co_u32_e32 v6, vcc, s6, v6
	v_addc_co_u32_e32 v7, vcc, v15, v7, vcc
	v_add_u32_e32 v15, v11, v8
	v_ashrrev_i32_e32 v16, 31, v15
	v_lshlrev_b64 v[15:16], 3, v[15:16]
	v_mov_b32_e32 v17, s9
	v_add_co_u32_e32 v15, vcc, s8, v15
	v_addc_co_u32_e32 v16, vcc, v17, v16, vcc
	global_load_dwordx2 v[6:7], v[6:7], off
	v_add_u32_e32 v8, 64, v8
	global_load_dwordx2 v[17:18], v[15:16], off
	v_cmp_le_i32_e32 vcc, s33, v8
	s_or_b64 s[20:21], vcc, s[20:21]
	v_add_u32_e32 v14, s23, v14
	s_waitcnt vmcnt(0)
	v_fma_f64 v[6:7], -v[4:5], v[6:7], v[17:18]
	global_store_dwordx2 v[15:16], v[6:7], off
	s_andn2_b64 exec, exec, s[20:21]
	s_cbranch_execz .LBB39_34
.LBB39_32:                              ;   Parent Loop BB39_27 Depth=1
                                        ; =>  This Inner Loop Header: Depth=2
	s_andn2_b64 vcc, exec, s[4:5]
	v_mov_b32_e32 v6, v14
	s_cbranch_vccnz .LBB39_31
; %bb.33:                               ;   in Loop: Header=BB39_32 Depth=2
	v_add_u32_e32 v6, v8, v9
	s_branch .LBB39_31
.LBB39_34:                              ;   in Loop: Header=BB39_27 Depth=1
	s_or_b64 exec, exec, s[18:19]
	s_add_i32 s22, s22, 1
	s_cmp_eq_u32 s22, s33
	v_add_u32_e32 v12, s17, v12
	s_cbranch_scc1 .LBB39_36
; %bb.35:                               ;   in Loop: Header=BB39_27 Depth=1
	s_mov_b64 s[18:19], s[12:13]
	v_mov_b32_e32 v6, 0
	v_mov_b32_e32 v7, 0x3ff00000
	s_and_b64 vcc, exec, s[0:1]
	s_cbranch_vccnz .LBB39_27
	s_branch .LBB39_26
.LBB39_36:
	s_and_b64 s[0:1], s[12:13], exec
.LBB39_37:
	s_or_b64 exec, exec, s[2:3]
	v_cmp_eq_u32_e32 vcc, 0, v0
	s_and_b64 exec, exec, vcc
	s_cbranch_execz .LBB39_43
; %bb.38:
	v_mov_b32_e32 v0, s11
	v_add_co_u32_e32 v2, vcc, s10, v2
	v_addc_co_u32_e32 v3, vcc, v0, v3, vcc
	v_mov_b32_e32 v0, 1
	s_waitcnt vmcnt(0)
	global_store_dword v[2:3], v0, off
	s_and_b64 exec, exec, s[0:1]
	s_cbranch_execz .LBB39_43
; %bb.39:
	s_mov_b64 s[0:1], exec
	v_add_u32_e32 v0, s16, v1
	s_brev_b32 s2, -2
.LBB39_40:                              ; =>This Inner Loop Header: Depth=1
	s_ff1_i32_b64 s3, s[0:1]
	v_readlane_b32 s6, v0, s3
	s_lshl_b64 s[4:5], 1, s3
	s_min_i32 s2, s2, s6
	s_andn2_b64 s[0:1], s[0:1], s[4:5]
	s_cmp_lg_u64 s[0:1], 0
	s_cbranch_scc1 .LBB39_40
; %bb.41:
	v_mbcnt_lo_u32_b32 v0, exec_lo, 0
	v_mbcnt_hi_u32_b32 v0, exec_hi, v0
	v_cmp_eq_u32_e32 vcc, 0, v0
	s_and_saveexec_b64 s[0:1], vcc
	s_xor_b64 s[0:1], exec, s[0:1]
	s_cbranch_execz .LBB39_43
; %bb.42:
	v_mov_b32_e32 v0, 0
	v_mov_b32_e32 v1, s2
	global_atomic_smin v0, v1, s[14:15]
.LBB39_43:
	s_endpgm
	.section	.rodata,"a",@progbits
	.p2align	6, 0x0
	.amdhsa_kernel _ZN9rocsparseL19bsrsv_lower_generalILj128ELj64ELb0EdEEviNS_24const_host_device_scalarIT2_EEPKiS5_PKS2_iS7_PS2_PiS9_S9_21rocsparse_index_base_20rocsparse_diag_type_20rocsparse_direction_b
		.amdhsa_group_segment_fixed_size 0
		.amdhsa_private_segment_fixed_size 0
		.amdhsa_kernarg_size 104
		.amdhsa_user_sgpr_count 6
		.amdhsa_user_sgpr_private_segment_buffer 1
		.amdhsa_user_sgpr_dispatch_ptr 0
		.amdhsa_user_sgpr_queue_ptr 0
		.amdhsa_user_sgpr_kernarg_segment_ptr 1
		.amdhsa_user_sgpr_dispatch_id 0
		.amdhsa_user_sgpr_flat_scratch_init 0
		.amdhsa_user_sgpr_private_segment_size 0
		.amdhsa_uses_dynamic_stack 0
		.amdhsa_system_sgpr_private_segment_wavefront_offset 0
		.amdhsa_system_sgpr_workgroup_id_x 1
		.amdhsa_system_sgpr_workgroup_id_y 0
		.amdhsa_system_sgpr_workgroup_id_z 0
		.amdhsa_system_sgpr_workgroup_info 0
		.amdhsa_system_vgpr_workitem_id 0
		.amdhsa_next_free_vgpr 22
		.amdhsa_next_free_sgpr 35
		.amdhsa_reserve_vcc 1
		.amdhsa_reserve_flat_scratch 0
		.amdhsa_float_round_mode_32 0
		.amdhsa_float_round_mode_16_64 0
		.amdhsa_float_denorm_mode_32 3
		.amdhsa_float_denorm_mode_16_64 3
		.amdhsa_dx10_clamp 1
		.amdhsa_ieee_mode 1
		.amdhsa_fp16_overflow 0
		.amdhsa_exception_fp_ieee_invalid_op 0
		.amdhsa_exception_fp_denorm_src 0
		.amdhsa_exception_fp_ieee_div_zero 0
		.amdhsa_exception_fp_ieee_overflow 0
		.amdhsa_exception_fp_ieee_underflow 0
		.amdhsa_exception_fp_ieee_inexact 0
		.amdhsa_exception_int_div_zero 0
	.end_amdhsa_kernel
	.section	.text._ZN9rocsparseL19bsrsv_lower_generalILj128ELj64ELb0EdEEviNS_24const_host_device_scalarIT2_EEPKiS5_PKS2_iS7_PS2_PiS9_S9_21rocsparse_index_base_20rocsparse_diag_type_20rocsparse_direction_b,"axG",@progbits,_ZN9rocsparseL19bsrsv_lower_generalILj128ELj64ELb0EdEEviNS_24const_host_device_scalarIT2_EEPKiS5_PKS2_iS7_PS2_PiS9_S9_21rocsparse_index_base_20rocsparse_diag_type_20rocsparse_direction_b,comdat
.Lfunc_end39:
	.size	_ZN9rocsparseL19bsrsv_lower_generalILj128ELj64ELb0EdEEviNS_24const_host_device_scalarIT2_EEPKiS5_PKS2_iS7_PS2_PiS9_S9_21rocsparse_index_base_20rocsparse_diag_type_20rocsparse_direction_b, .Lfunc_end39-_ZN9rocsparseL19bsrsv_lower_generalILj128ELj64ELb0EdEEviNS_24const_host_device_scalarIT2_EEPKiS5_PKS2_iS7_PS2_PiS9_S9_21rocsparse_index_base_20rocsparse_diag_type_20rocsparse_direction_b
                                        ; -- End function
	.set _ZN9rocsparseL19bsrsv_lower_generalILj128ELj64ELb0EdEEviNS_24const_host_device_scalarIT2_EEPKiS5_PKS2_iS7_PS2_PiS9_S9_21rocsparse_index_base_20rocsparse_diag_type_20rocsparse_direction_b.num_vgpr, 22
	.set _ZN9rocsparseL19bsrsv_lower_generalILj128ELj64ELb0EdEEviNS_24const_host_device_scalarIT2_EEPKiS5_PKS2_iS7_PS2_PiS9_S9_21rocsparse_index_base_20rocsparse_diag_type_20rocsparse_direction_b.num_agpr, 0
	.set _ZN9rocsparseL19bsrsv_lower_generalILj128ELj64ELb0EdEEviNS_24const_host_device_scalarIT2_EEPKiS5_PKS2_iS7_PS2_PiS9_S9_21rocsparse_index_base_20rocsparse_diag_type_20rocsparse_direction_b.numbered_sgpr, 35
	.set _ZN9rocsparseL19bsrsv_lower_generalILj128ELj64ELb0EdEEviNS_24const_host_device_scalarIT2_EEPKiS5_PKS2_iS7_PS2_PiS9_S9_21rocsparse_index_base_20rocsparse_diag_type_20rocsparse_direction_b.num_named_barrier, 0
	.set _ZN9rocsparseL19bsrsv_lower_generalILj128ELj64ELb0EdEEviNS_24const_host_device_scalarIT2_EEPKiS5_PKS2_iS7_PS2_PiS9_S9_21rocsparse_index_base_20rocsparse_diag_type_20rocsparse_direction_b.private_seg_size, 0
	.set _ZN9rocsparseL19bsrsv_lower_generalILj128ELj64ELb0EdEEviNS_24const_host_device_scalarIT2_EEPKiS5_PKS2_iS7_PS2_PiS9_S9_21rocsparse_index_base_20rocsparse_diag_type_20rocsparse_direction_b.uses_vcc, 1
	.set _ZN9rocsparseL19bsrsv_lower_generalILj128ELj64ELb0EdEEviNS_24const_host_device_scalarIT2_EEPKiS5_PKS2_iS7_PS2_PiS9_S9_21rocsparse_index_base_20rocsparse_diag_type_20rocsparse_direction_b.uses_flat_scratch, 0
	.set _ZN9rocsparseL19bsrsv_lower_generalILj128ELj64ELb0EdEEviNS_24const_host_device_scalarIT2_EEPKiS5_PKS2_iS7_PS2_PiS9_S9_21rocsparse_index_base_20rocsparse_diag_type_20rocsparse_direction_b.has_dyn_sized_stack, 0
	.set _ZN9rocsparseL19bsrsv_lower_generalILj128ELj64ELb0EdEEviNS_24const_host_device_scalarIT2_EEPKiS5_PKS2_iS7_PS2_PiS9_S9_21rocsparse_index_base_20rocsparse_diag_type_20rocsparse_direction_b.has_recursion, 0
	.set _ZN9rocsparseL19bsrsv_lower_generalILj128ELj64ELb0EdEEviNS_24const_host_device_scalarIT2_EEPKiS5_PKS2_iS7_PS2_PiS9_S9_21rocsparse_index_base_20rocsparse_diag_type_20rocsparse_direction_b.has_indirect_call, 0
	.section	.AMDGPU.csdata,"",@progbits
; Kernel info:
; codeLenInByte = 1616
; TotalNumSgprs: 39
; NumVgprs: 22
; ScratchSize: 0
; MemoryBound: 0
; FloatMode: 240
; IeeeMode: 1
; LDSByteSize: 0 bytes/workgroup (compile time only)
; SGPRBlocks: 4
; VGPRBlocks: 5
; NumSGPRsForWavesPerEU: 39
; NumVGPRsForWavesPerEU: 22
; Occupancy: 10
; WaveLimiterHint : 1
; COMPUTE_PGM_RSRC2:SCRATCH_EN: 0
; COMPUTE_PGM_RSRC2:USER_SGPR: 6
; COMPUTE_PGM_RSRC2:TRAP_HANDLER: 0
; COMPUTE_PGM_RSRC2:TGID_X_EN: 1
; COMPUTE_PGM_RSRC2:TGID_Y_EN: 0
; COMPUTE_PGM_RSRC2:TGID_Z_EN: 0
; COMPUTE_PGM_RSRC2:TIDIG_COMP_CNT: 0
	.section	.text._ZN9rocsparseL19bsrsv_upper_generalILj128ELj64ELb1EdEEviNS_24const_host_device_scalarIT2_EEPKiS5_PKS2_iS7_PS2_PiS9_S9_21rocsparse_index_base_20rocsparse_diag_type_20rocsparse_direction_b,"axG",@progbits,_ZN9rocsparseL19bsrsv_upper_generalILj128ELj64ELb1EdEEviNS_24const_host_device_scalarIT2_EEPKiS5_PKS2_iS7_PS2_PiS9_S9_21rocsparse_index_base_20rocsparse_diag_type_20rocsparse_direction_b,comdat
	.globl	_ZN9rocsparseL19bsrsv_upper_generalILj128ELj64ELb1EdEEviNS_24const_host_device_scalarIT2_EEPKiS5_PKS2_iS7_PS2_PiS9_S9_21rocsparse_index_base_20rocsparse_diag_type_20rocsparse_direction_b ; -- Begin function _ZN9rocsparseL19bsrsv_upper_generalILj128ELj64ELb1EdEEviNS_24const_host_device_scalarIT2_EEPKiS5_PKS2_iS7_PS2_PiS9_S9_21rocsparse_index_base_20rocsparse_diag_type_20rocsparse_direction_b
	.p2align	8
	.type	_ZN9rocsparseL19bsrsv_upper_generalILj128ELj64ELb1EdEEviNS_24const_host_device_scalarIT2_EEPKiS5_PKS2_iS7_PS2_PiS9_S9_21rocsparse_index_base_20rocsparse_diag_type_20rocsparse_direction_b,@function
_ZN9rocsparseL19bsrsv_upper_generalILj128ELj64ELb1EdEEviNS_24const_host_device_scalarIT2_EEPKiS5_PKS2_iS7_PS2_PiS9_S9_21rocsparse_index_base_20rocsparse_diag_type_20rocsparse_direction_b: ; @_ZN9rocsparseL19bsrsv_upper_generalILj128ELj64ELb1EdEEviNS_24const_host_device_scalarIT2_EEPKiS5_PKS2_iS7_PS2_PiS9_S9_21rocsparse_index_base_20rocsparse_diag_type_20rocsparse_direction_b
; %bb.0:
	s_load_dwordx4 s[16:19], s[4:5], 0x58
	s_load_dwordx2 s[0:1], s[4:5], 0x8
	s_waitcnt lgkmcnt(0)
	s_bitcmp1_b32 s19, 0
	s_cselect_b64 s[2:3], -1, 0
	v_mov_b32_e32 v5, s1
	s_and_b64 vcc, exec, s[2:3]
	v_mov_b32_e32 v4, s0
	s_cbranch_vccnz .LBB40_2
; %bb.1:
	v_mov_b32_e32 v2, s1
	v_mov_b32_e32 v1, s0
	flat_load_dwordx2 v[4:5], v[1:2]
.LBB40_2:
	s_load_dword s19, s[4:5], 0x0
	s_lshl_b32 s0, s6, 1
	v_lshrrev_b32_e32 v1, 6, v0
	s_and_b32 s0, s0, 0x3fffffe
	v_or_b32_e32 v1, s0, v1
	s_waitcnt lgkmcnt(0)
	v_cmp_gt_i32_e32 vcc, s19, v1
	s_and_saveexec_b64 s[0:1], vcc
	s_cbranch_execz .LBB40_47
; %bb.3:
	s_load_dwordx8 s[8:15], s[4:5], 0x38
	v_lshlrev_b32_e32 v1, 2, v1
	s_load_dword s33, s[4:5], 0x28
	v_and_b32_e32 v0, 63, v0
	s_waitcnt lgkmcnt(0)
	global_load_dword v1, v1, s[12:13]
	s_load_dwordx4 s[0:3], s[4:5], 0x10
	s_load_dwordx2 s[6:7], s[4:5], 0x20
	s_waitcnt lgkmcnt(0)
	v_mov_b32_e32 v7, s1
	s_waitcnt vmcnt(0)
	v_ashrrev_i32_e32 v2, 31, v1
	v_lshlrev_b64 v[2:3], 2, v[1:2]
	v_add_co_u32_e32 v6, vcc, s0, v2
	v_addc_co_u32_e32 v7, vcc, v7, v3, vcc
	global_load_dwordx2 v[6:7], v[6:7], off
	v_cmp_gt_i32_e64 s[0:1], s33, v0
	s_and_saveexec_b64 s[12:13], s[0:1]
	s_cbranch_execz .LBB40_6
; %bb.4:
	v_mad_u64_u32 v[8:9], s[20:21], v1, s33, v[0:1]
	s_load_dwordx2 s[4:5], s[4:5], 0x30
	v_mov_b32_e32 v12, s9
	v_ashrrev_i32_e32 v9, 31, v8
	v_lshlrev_b64 v[10:11], 3, v[8:9]
	s_waitcnt lgkmcnt(0)
	v_mov_b32_e32 v9, s5
	v_add_co_u32_e32 v8, vcc, s4, v10
	v_addc_co_u32_e32 v9, vcc, v9, v11, vcc
	v_add_co_u32_e32 v10, vcc, s8, v10
	v_addc_co_u32_e32 v11, vcc, v12, v11, vcc
	s_mov_b64 s[4:5], 0
	v_mov_b32_e32 v12, v0
.LBB40_5:                               ; =>This Inner Loop Header: Depth=1
	global_load_dwordx2 v[13:14], v[8:9], off
	v_add_co_u32_e32 v8, vcc, 0x200, v8
	v_add_u32_e32 v12, 64, v12
	v_addc_co_u32_e32 v9, vcc, 0, v9, vcc
	v_cmp_le_i32_e32 vcc, s33, v12
	s_or_b64 s[4:5], vcc, s[4:5]
	s_waitcnt vmcnt(0)
	v_mul_f64 v[13:14], v[4:5], v[13:14]
	global_store_dwordx2 v[10:11], v[13:14], off
	v_add_co_u32_e32 v10, vcc, 0x200, v10
	v_addc_co_u32_e32 v11, vcc, 0, v11, vcc
	s_andn2_b64 exec, exec, s[4:5]
	s_cbranch_execnz .LBB40_5
.LBB40_6:
	s_or_b64 exec, exec, s[12:13]
	v_mul_lo_u32 v11, v1, s33
	s_waitcnt vmcnt(0)
	v_subrev_u32_e32 v12, s16, v6
	v_xad_u32 v4, s16, -1, v7
	v_cmp_ge_i32_e32 vcc, v4, v12
	v_mov_b32_e32 v5, s19
	s_and_saveexec_b64 s[4:5], vcc
	s_cbranch_execz .LBB40_26
; %bb.7:
	v_mad_u64_u32 v[5:6], s[12:13], s33, v4, v[0:1]
	s_cmp_lg_u32 s18, 0
	s_cselect_b64 s[12:13], -1, 0
	v_mul_lo_u32 v13, s33, v5
	s_mul_i32 s19, s33, s33
	s_lshl_b32 s34, s33, 6
	s_mov_b64 s[20:21], 0
	v_mov_b32_e32 v14, s3
                                        ; implicit-def: $sgpr22_sgpr23
	s_branch .LBB40_10
.LBB40_8:                               ;   in Loop: Header=BB40_10 Depth=1
	s_or_b64 exec, exec, s[26:27]
	v_cmp_le_i32_e32 vcc, v4, v12
	v_add_u32_e32 v6, -1, v4
	s_andn2_b64 s[22:23], s[22:23], exec
	s_and_b64 s[26:27], vcc, exec
	v_subrev_u32_e32 v13, s19, v13
	s_or_b64 s[22:23], s[22:23], s[26:27]
	v_mov_b32_e32 v4, v6
.LBB40_9:                               ;   in Loop: Header=BB40_10 Depth=1
	s_or_b64 exec, exec, s[24:25]
	s_and_b64 s[24:25], exec, s[22:23]
	s_or_b64 s[20:21], s[24:25], s[20:21]
	s_andn2_b64 exec, exec, s[20:21]
	s_cbranch_execz .LBB40_25
.LBB40_10:                              ; =>This Loop Header: Depth=1
                                        ;     Child Loop BB40_14 Depth 2
                                        ;       Child Loop BB40_15 Depth 3
                                        ;     Child Loop BB40_19 Depth 2
                                        ;       Child Loop BB40_21 Depth 3
	v_ashrrev_i32_e32 v5, 31, v4
	v_lshlrev_b64 v[5:6], 2, v[4:5]
	s_or_b64 s[22:23], s[22:23], exec
	v_add_co_u32_e32 v5, vcc, s2, v5
	v_addc_co_u32_e32 v6, vcc, v14, v6, vcc
	global_load_dword v5, v[5:6], off
	s_waitcnt vmcnt(0)
	v_subrev_u32_e32 v5, s16, v5
	v_cmp_gt_i32_e32 vcc, v5, v1
	s_and_saveexec_b64 s[24:25], vcc
	s_cbranch_execz .LBB40_9
; %bb.11:                               ;   in Loop: Header=BB40_10 Depth=1
	v_ashrrev_i32_e32 v6, 31, v5
	v_lshlrev_b64 v[6:7], 2, v[5:6]
	v_mov_b32_e32 v8, s11
	v_add_co_u32_e32 v6, vcc, s10, v6
	v_addc_co_u32_e32 v7, vcc, v8, v7, vcc
	global_load_dword v8, v[6:7], off glc
	s_waitcnt vmcnt(0)
	v_cmp_eq_u32_e32 vcc, 0, v8
	s_and_saveexec_b64 s[26:27], vcc
	s_cbranch_execz .LBB40_16
; %bb.12:                               ;   in Loop: Header=BB40_10 Depth=1
	s_mov_b32 s3, 0
	s_mov_b64 s[28:29], 0
	s_branch .LBB40_14
.LBB40_13:                              ;   in Loop: Header=BB40_14 Depth=2
	global_load_dword v8, v[6:7], off glc
	s_cmpk_lt_u32 s3, 0xf43
	s_cselect_b64 s[30:31], -1, 0
	s_cmp_lg_u64 s[30:31], 0
	s_addc_u32 s3, s3, 0
	s_waitcnt vmcnt(0)
	v_cmp_ne_u32_e32 vcc, 0, v8
	s_or_b64 s[28:29], vcc, s[28:29]
	s_andn2_b64 exec, exec, s[28:29]
	s_cbranch_execz .LBB40_16
.LBB40_14:                              ;   Parent Loop BB40_10 Depth=1
                                        ; =>  This Loop Header: Depth=2
                                        ;       Child Loop BB40_15 Depth 3
	s_cmp_eq_u32 s3, 0
	s_mov_b32 s30, s3
	s_cbranch_scc1 .LBB40_13
.LBB40_15:                              ;   Parent Loop BB40_10 Depth=1
                                        ;     Parent Loop BB40_14 Depth=2
                                        ; =>    This Inner Loop Header: Depth=3
	s_add_i32 s30, s30, -1
	s_cmp_eq_u32 s30, 0
	s_sleep 1
	s_cbranch_scc0 .LBB40_15
	s_branch .LBB40_13
.LBB40_16:                              ;   in Loop: Header=BB40_10 Depth=1
	s_or_b64 exec, exec, s[26:27]
	buffer_wbinvl1_vol
	s_and_saveexec_b64 s[26:27], s[0:1]
	s_cbranch_execz .LBB40_8
; %bb.17:                               ;   in Loop: Header=BB40_10 Depth=1
	v_mul_lo_u32 v15, v4, s33
	v_mul_lo_u32 v16, v5, s33
	s_mov_b64 s[28:29], 0
	v_mov_b32_e32 v17, v13
	v_mov_b32_e32 v6, v0
	s_branch .LBB40_19
.LBB40_18:                              ;   in Loop: Header=BB40_19 Depth=2
	v_add_u32_e32 v9, v6, v11
	v_ashrrev_i32_e32 v10, 31, v9
	v_lshlrev_b64 v[9:10], 3, v[9:10]
	v_mov_b32_e32 v18, s9
	v_add_co_u32_e32 v9, vcc, s8, v9
	v_addc_co_u32_e32 v10, vcc, v18, v10, vcc
	global_load_dwordx2 v[18:19], v[9:10], off
	v_add_u32_e32 v6, 64, v6
	v_cmp_le_i32_e32 vcc, s33, v6
	s_or_b64 s[28:29], vcc, s[28:29]
	v_add_u32_e32 v17, s34, v17
	s_waitcnt vmcnt(0)
	v_add_f64 v[7:8], v[18:19], -v[7:8]
	global_store_dwordx2 v[9:10], v[7:8], off
	s_andn2_b64 exec, exec, s[28:29]
	s_cbranch_execz .LBB40_8
.LBB40_19:                              ;   Parent Loop BB40_10 Depth=1
                                        ; =>  This Loop Header: Depth=2
                                        ;       Child Loop BB40_21 Depth 3
	v_mov_b32_e32 v7, 0
	v_mov_b32_e32 v8, 0
	s_mov_b32 s3, 0
	s_branch .LBB40_21
.LBB40_20:                              ;   in Loop: Header=BB40_21 Depth=3
	v_ashrrev_i32_e32 v10, 31, v9
	v_lshlrev_b64 v[9:10], 3, v[9:10]
	v_mov_b32_e32 v18, s7
	v_add_co_u32_e32 v9, vcc, s6, v9
	v_addc_co_u32_e32 v10, vcc, v18, v10, vcc
	v_add_u32_e32 v18, s3, v16
	v_ashrrev_i32_e32 v19, 31, v18
	v_lshlrev_b64 v[18:19], 3, v[18:19]
	v_mov_b32_e32 v20, s9
	v_add_co_u32_e32 v18, vcc, s8, v18
	v_addc_co_u32_e32 v19, vcc, v20, v19, vcc
	global_load_dwordx2 v[9:10], v[9:10], off
	s_add_i32 s3, s3, 1
	global_load_dwordx2 v[18:19], v[18:19], off
	s_cmp_eq_u32 s33, s3
	s_waitcnt vmcnt(0)
	v_fma_f64 v[7:8], v[9:10], v[18:19], v[7:8]
	s_cbranch_scc1 .LBB40_18
.LBB40_21:                              ;   Parent Loop BB40_10 Depth=1
                                        ;     Parent Loop BB40_19 Depth=2
                                        ; =>    This Inner Loop Header: Depth=3
	s_and_b64 vcc, exec, s[12:13]
	s_cbranch_vccz .LBB40_23
; %bb.22:                               ;   in Loop: Header=BB40_21 Depth=3
	v_add_u32_e32 v9, s3, v15
	v_mad_u64_u32 v[9:10], s[30:31], v9, s33, v[6:7]
	s_cbranch_execnz .LBB40_20
	s_branch .LBB40_24
.LBB40_23:                              ;   in Loop: Header=BB40_21 Depth=3
                                        ; implicit-def: $vgpr9
.LBB40_24:                              ;   in Loop: Header=BB40_21 Depth=3
	v_add_u32_e32 v9, s3, v17
	s_branch .LBB40_20
.LBB40_25:
	s_or_b64 exec, exec, s[20:21]
.LBB40_26:
	s_or_b64 exec, exec, s[4:5]
	s_cmp_gt_i32 s33, 0
	v_cmp_eq_u32_e32 vcc, v5, v1
	s_cselect_b64 s[0:1], -1, 0
	s_and_b64 s[4:5], s[0:1], vcc
	s_mov_b64 s[0:1], 0
	s_and_saveexec_b64 s[2:3], s[4:5]
	s_cbranch_execz .LBB40_41
; %bb.27:
	v_mul_lo_u32 v10, v4, s33
	s_cmp_eq_u32 s17, 0
	s_cselect_b64 s[0:1], -1, 0
	s_cmp_lg_u32 s18, 0
	v_add_u32_e32 v4, v10, v0
	v_mul_lo_u32 v4, s33, v4
	s_mov_b64 s[20:21], 0
	s_cselect_b64 s[4:5], -1, 0
	s_lshl_b32 s17, s33, 6
	v_add3_u32 v12, v4, s33, -1
	v_cndmask_b32_e64 v4, 0, 1, s[0:1]
	v_cmp_ne_u32_e64 s[0:1], 1, v4
	v_mov_b32_e32 v13, s9
                                        ; implicit-def: $sgpr12_sgpr13
	s_mov_b32 s22, s33
.LBB40_28:                              ; =>This Loop Header: Depth=1
                                        ;     Child Loop BB40_35 Depth 2
	v_mov_b32_e32 v6, 0
	v_mov_b32_e32 v7, 0x3ff00000
	s_and_b64 vcc, exec, s[0:1]
	s_add_i32 s23, s22, -1
	s_cbranch_vccnz .LBB40_30
; %bb.29:                               ;   in Loop: Header=BB40_28 Depth=1
	s_waitcnt vmcnt(0)
	v_add_u32_e32 v4, s23, v10
	v_mul_lo_u32 v4, v4, s33
	v_mov_b32_e32 v6, s7
	v_add_u32_e32 v4, s23, v4
	v_ashrrev_i32_e32 v5, 31, v4
	v_lshlrev_b64 v[4:5], 3, v[4:5]
	v_add_co_u32_e32 v4, vcc, s6, v4
	v_addc_co_u32_e32 v5, vcc, v6, v5, vcc
	global_load_dwordx2 v[6:7], v[4:5], off
.LBB40_30:                              ;   in Loop: Header=BB40_28 Depth=1
	s_ashr_i32 s18, s22, 31
	s_waitcnt vmcnt(0)
	v_mov_b32_e32 v5, s18
	v_ashrrev_i32_e32 v8, 31, v11
	v_add_co_u32_e32 v4, vcc, s22, v11
	v_addc_co_u32_e32 v5, vcc, v5, v8, vcc
	v_lshlrev_b64 v[4:5], 3, v[4:5]
	s_or_b64 s[12:13], s[12:13], exec
	v_add_co_u32_e32 v8, vcc, s8, v4
	v_addc_co_u32_e32 v9, vcc, v13, v5, vcc
	global_load_dwordx2 v[4:5], v[8:9], off offset:-8
	s_waitcnt vmcnt(1)
	v_cmp_neq_f64_e32 vcc, 0, v[6:7]
	s_and_saveexec_b64 s[18:19], vcc
	s_cbranch_execz .LBB40_32
; %bb.31:                               ;   in Loop: Header=BB40_28 Depth=1
	s_waitcnt vmcnt(0)
	v_div_scale_f64 v[14:15], s[24:25], v[6:7], v[6:7], v[4:5]
	s_andn2_b64 s[12:13], s[12:13], exec
	s_and_b64 s[20:21], s[20:21], exec
	s_or_b64 s[12:13], s[12:13], s[20:21]
	v_rcp_f64_e32 v[16:17], v[14:15]
	v_fma_f64 v[18:19], -v[14:15], v[16:17], 1.0
	v_fma_f64 v[16:17], v[16:17], v[18:19], v[16:17]
	v_div_scale_f64 v[18:19], vcc, v[4:5], v[6:7], v[4:5]
	v_fma_f64 v[20:21], -v[14:15], v[16:17], 1.0
	v_fma_f64 v[16:17], v[16:17], v[20:21], v[16:17]
	v_mul_f64 v[20:21], v[18:19], v[16:17]
	v_fma_f64 v[14:15], -v[14:15], v[20:21], v[18:19]
	v_div_fmas_f64 v[14:15], v[14:15], v[16:17], v[20:21]
	v_div_fixup_f64 v[4:5], v[14:15], v[6:7], v[4:5]
	global_store_dwordx2 v[8:9], v[4:5], off offset:-8
.LBB40_32:                              ;   in Loop: Header=BB40_28 Depth=1
	s_or_b64 exec, exec, s[18:19]
	v_cmp_gt_i32_e32 vcc, s23, v0
	s_and_saveexec_b64 s[18:19], vcc
	s_cbranch_execz .LBB40_37
; %bb.33:                               ;   in Loop: Header=BB40_28 Depth=1
	v_add_u32_e32 v6, s23, v10
	v_mul_lo_u32 v8, v6, s33
	s_mov_b64 s[20:21], 0
	v_mov_b32_e32 v9, v12
	v_mov_b32_e32 v14, v0
	s_branch .LBB40_35
.LBB40_34:                              ;   in Loop: Header=BB40_35 Depth=2
	v_ashrrev_i32_e32 v7, 31, v6
	v_lshlrev_b64 v[6:7], 3, v[6:7]
	v_mov_b32_e32 v15, s7
	v_add_co_u32_e32 v6, vcc, s6, v6
	v_addc_co_u32_e32 v7, vcc, v15, v7, vcc
	v_add_u32_e32 v15, v11, v14
	v_ashrrev_i32_e32 v16, 31, v15
	v_lshlrev_b64 v[15:16], 3, v[15:16]
	v_mov_b32_e32 v17, s9
	v_add_co_u32_e32 v15, vcc, s8, v15
	v_addc_co_u32_e32 v16, vcc, v17, v16, vcc
	global_load_dwordx2 v[6:7], v[6:7], off
	v_add_u32_e32 v14, 64, v14
	global_load_dwordx2 v[17:18], v[15:16], off
	v_cmp_le_i32_e32 vcc, s23, v14
	s_or_b64 s[20:21], vcc, s[20:21]
	v_add_u32_e32 v9, s17, v9
	s_waitcnt vmcnt(0)
	v_fma_f64 v[6:7], -v[4:5], v[6:7], v[17:18]
	global_store_dwordx2 v[15:16], v[6:7], off
	s_andn2_b64 exec, exec, s[20:21]
	s_cbranch_execz .LBB40_37
.LBB40_35:                              ;   Parent Loop BB40_28 Depth=1
                                        ; =>  This Inner Loop Header: Depth=2
	s_andn2_b64 vcc, exec, s[4:5]
	v_mov_b32_e32 v6, v9
	s_cbranch_vccnz .LBB40_34
; %bb.36:                               ;   in Loop: Header=BB40_35 Depth=2
	v_add_u32_e32 v6, v14, v8
	s_branch .LBB40_34
.LBB40_37:                              ;   in Loop: Header=BB40_28 Depth=1
	s_or_b64 exec, exec, s[18:19]
; %bb.38:                               ;   in Loop: Header=BB40_28 Depth=1
	s_cmp_lt_i32 s22, 2
	v_add_u32_e32 v12, -1, v12
	s_cbranch_scc1 .LBB40_40
; %bb.39:                               ;   in Loop: Header=BB40_28 Depth=1
	s_mov_b64 s[20:21], s[12:13]
	s_mov_b32 s22, s23
	s_branch .LBB40_28
.LBB40_40:
	s_and_b64 s[0:1], s[12:13], exec
.LBB40_41:
	s_or_b64 exec, exec, s[2:3]
	v_cmp_eq_u32_e32 vcc, 0, v0
	s_and_b64 exec, exec, vcc
	s_cbranch_execz .LBB40_47
; %bb.42:
	v_mov_b32_e32 v0, s11
	v_add_co_u32_e32 v2, vcc, s10, v2
	v_addc_co_u32_e32 v3, vcc, v0, v3, vcc
	v_mov_b32_e32 v0, 1
	s_waitcnt vmcnt(0)
	global_store_dword v[2:3], v0, off
	s_and_b64 exec, exec, s[0:1]
	s_cbranch_execz .LBB40_47
; %bb.43:
	s_mov_b64 s[0:1], exec
	v_add_u32_e32 v0, s16, v1
	s_brev_b32 s2, -2
.LBB40_44:                              ; =>This Inner Loop Header: Depth=1
	s_ff1_i32_b64 s3, s[0:1]
	v_readlane_b32 s6, v0, s3
	s_lshl_b64 s[4:5], 1, s3
	s_min_i32 s2, s2, s6
	s_andn2_b64 s[0:1], s[0:1], s[4:5]
	s_cmp_lg_u64 s[0:1], 0
	s_cbranch_scc1 .LBB40_44
; %bb.45:
	v_mbcnt_lo_u32_b32 v0, exec_lo, 0
	v_mbcnt_hi_u32_b32 v0, exec_hi, v0
	v_cmp_eq_u32_e32 vcc, 0, v0
	s_and_saveexec_b64 s[0:1], vcc
	s_xor_b64 s[0:1], exec, s[0:1]
	s_cbranch_execz .LBB40_47
; %bb.46:
	v_mov_b32_e32 v0, 0
	v_mov_b32_e32 v1, s2
	global_atomic_smin v0, v1, s[14:15]
.LBB40_47:
	s_endpgm
	.section	.rodata,"a",@progbits
	.p2align	6, 0x0
	.amdhsa_kernel _ZN9rocsparseL19bsrsv_upper_generalILj128ELj64ELb1EdEEviNS_24const_host_device_scalarIT2_EEPKiS5_PKS2_iS7_PS2_PiS9_S9_21rocsparse_index_base_20rocsparse_diag_type_20rocsparse_direction_b
		.amdhsa_group_segment_fixed_size 0
		.amdhsa_private_segment_fixed_size 0
		.amdhsa_kernarg_size 104
		.amdhsa_user_sgpr_count 6
		.amdhsa_user_sgpr_private_segment_buffer 1
		.amdhsa_user_sgpr_dispatch_ptr 0
		.amdhsa_user_sgpr_queue_ptr 0
		.amdhsa_user_sgpr_kernarg_segment_ptr 1
		.amdhsa_user_sgpr_dispatch_id 0
		.amdhsa_user_sgpr_flat_scratch_init 0
		.amdhsa_user_sgpr_private_segment_size 0
		.amdhsa_uses_dynamic_stack 0
		.amdhsa_system_sgpr_private_segment_wavefront_offset 0
		.amdhsa_system_sgpr_workgroup_id_x 1
		.amdhsa_system_sgpr_workgroup_id_y 0
		.amdhsa_system_sgpr_workgroup_id_z 0
		.amdhsa_system_sgpr_workgroup_info 0
		.amdhsa_system_vgpr_workitem_id 0
		.amdhsa_next_free_vgpr 22
		.amdhsa_next_free_sgpr 35
		.amdhsa_reserve_vcc 1
		.amdhsa_reserve_flat_scratch 0
		.amdhsa_float_round_mode_32 0
		.amdhsa_float_round_mode_16_64 0
		.amdhsa_float_denorm_mode_32 3
		.amdhsa_float_denorm_mode_16_64 3
		.amdhsa_dx10_clamp 1
		.amdhsa_ieee_mode 1
		.amdhsa_fp16_overflow 0
		.amdhsa_exception_fp_ieee_invalid_op 0
		.amdhsa_exception_fp_denorm_src 0
		.amdhsa_exception_fp_ieee_div_zero 0
		.amdhsa_exception_fp_ieee_overflow 0
		.amdhsa_exception_fp_ieee_underflow 0
		.amdhsa_exception_fp_ieee_inexact 0
		.amdhsa_exception_int_div_zero 0
	.end_amdhsa_kernel
	.section	.text._ZN9rocsparseL19bsrsv_upper_generalILj128ELj64ELb1EdEEviNS_24const_host_device_scalarIT2_EEPKiS5_PKS2_iS7_PS2_PiS9_S9_21rocsparse_index_base_20rocsparse_diag_type_20rocsparse_direction_b,"axG",@progbits,_ZN9rocsparseL19bsrsv_upper_generalILj128ELj64ELb1EdEEviNS_24const_host_device_scalarIT2_EEPKiS5_PKS2_iS7_PS2_PiS9_S9_21rocsparse_index_base_20rocsparse_diag_type_20rocsparse_direction_b,comdat
.Lfunc_end40:
	.size	_ZN9rocsparseL19bsrsv_upper_generalILj128ELj64ELb1EdEEviNS_24const_host_device_scalarIT2_EEPKiS5_PKS2_iS7_PS2_PiS9_S9_21rocsparse_index_base_20rocsparse_diag_type_20rocsparse_direction_b, .Lfunc_end40-_ZN9rocsparseL19bsrsv_upper_generalILj128ELj64ELb1EdEEviNS_24const_host_device_scalarIT2_EEPKiS5_PKS2_iS7_PS2_PiS9_S9_21rocsparse_index_base_20rocsparse_diag_type_20rocsparse_direction_b
                                        ; -- End function
	.set _ZN9rocsparseL19bsrsv_upper_generalILj128ELj64ELb1EdEEviNS_24const_host_device_scalarIT2_EEPKiS5_PKS2_iS7_PS2_PiS9_S9_21rocsparse_index_base_20rocsparse_diag_type_20rocsparse_direction_b.num_vgpr, 22
	.set _ZN9rocsparseL19bsrsv_upper_generalILj128ELj64ELb1EdEEviNS_24const_host_device_scalarIT2_EEPKiS5_PKS2_iS7_PS2_PiS9_S9_21rocsparse_index_base_20rocsparse_diag_type_20rocsparse_direction_b.num_agpr, 0
	.set _ZN9rocsparseL19bsrsv_upper_generalILj128ELj64ELb1EdEEviNS_24const_host_device_scalarIT2_EEPKiS5_PKS2_iS7_PS2_PiS9_S9_21rocsparse_index_base_20rocsparse_diag_type_20rocsparse_direction_b.numbered_sgpr, 35
	.set _ZN9rocsparseL19bsrsv_upper_generalILj128ELj64ELb1EdEEviNS_24const_host_device_scalarIT2_EEPKiS5_PKS2_iS7_PS2_PiS9_S9_21rocsparse_index_base_20rocsparse_diag_type_20rocsparse_direction_b.num_named_barrier, 0
	.set _ZN9rocsparseL19bsrsv_upper_generalILj128ELj64ELb1EdEEviNS_24const_host_device_scalarIT2_EEPKiS5_PKS2_iS7_PS2_PiS9_S9_21rocsparse_index_base_20rocsparse_diag_type_20rocsparse_direction_b.private_seg_size, 0
	.set _ZN9rocsparseL19bsrsv_upper_generalILj128ELj64ELb1EdEEviNS_24const_host_device_scalarIT2_EEPKiS5_PKS2_iS7_PS2_PiS9_S9_21rocsparse_index_base_20rocsparse_diag_type_20rocsparse_direction_b.uses_vcc, 1
	.set _ZN9rocsparseL19bsrsv_upper_generalILj128ELj64ELb1EdEEviNS_24const_host_device_scalarIT2_EEPKiS5_PKS2_iS7_PS2_PiS9_S9_21rocsparse_index_base_20rocsparse_diag_type_20rocsparse_direction_b.uses_flat_scratch, 0
	.set _ZN9rocsparseL19bsrsv_upper_generalILj128ELj64ELb1EdEEviNS_24const_host_device_scalarIT2_EEPKiS5_PKS2_iS7_PS2_PiS9_S9_21rocsparse_index_base_20rocsparse_diag_type_20rocsparse_direction_b.has_dyn_sized_stack, 0
	.set _ZN9rocsparseL19bsrsv_upper_generalILj128ELj64ELb1EdEEviNS_24const_host_device_scalarIT2_EEPKiS5_PKS2_iS7_PS2_PiS9_S9_21rocsparse_index_base_20rocsparse_diag_type_20rocsparse_direction_b.has_recursion, 0
	.set _ZN9rocsparseL19bsrsv_upper_generalILj128ELj64ELb1EdEEviNS_24const_host_device_scalarIT2_EEPKiS5_PKS2_iS7_PS2_PiS9_S9_21rocsparse_index_base_20rocsparse_diag_type_20rocsparse_direction_b.has_indirect_call, 0
	.section	.AMDGPU.csdata,"",@progbits
; Kernel info:
; codeLenInByte = 1672
; TotalNumSgprs: 39
; NumVgprs: 22
; ScratchSize: 0
; MemoryBound: 0
; FloatMode: 240
; IeeeMode: 1
; LDSByteSize: 0 bytes/workgroup (compile time only)
; SGPRBlocks: 4
; VGPRBlocks: 5
; NumSGPRsForWavesPerEU: 39
; NumVGPRsForWavesPerEU: 22
; Occupancy: 10
; WaveLimiterHint : 1
; COMPUTE_PGM_RSRC2:SCRATCH_EN: 0
; COMPUTE_PGM_RSRC2:USER_SGPR: 6
; COMPUTE_PGM_RSRC2:TRAP_HANDLER: 0
; COMPUTE_PGM_RSRC2:TGID_X_EN: 1
; COMPUTE_PGM_RSRC2:TGID_Y_EN: 0
; COMPUTE_PGM_RSRC2:TGID_Z_EN: 0
; COMPUTE_PGM_RSRC2:TIDIG_COMP_CNT: 0
	.section	.text._ZN9rocsparseL19bsrsv_upper_generalILj128ELj64ELb0EdEEviNS_24const_host_device_scalarIT2_EEPKiS5_PKS2_iS7_PS2_PiS9_S9_21rocsparse_index_base_20rocsparse_diag_type_20rocsparse_direction_b,"axG",@progbits,_ZN9rocsparseL19bsrsv_upper_generalILj128ELj64ELb0EdEEviNS_24const_host_device_scalarIT2_EEPKiS5_PKS2_iS7_PS2_PiS9_S9_21rocsparse_index_base_20rocsparse_diag_type_20rocsparse_direction_b,comdat
	.globl	_ZN9rocsparseL19bsrsv_upper_generalILj128ELj64ELb0EdEEviNS_24const_host_device_scalarIT2_EEPKiS5_PKS2_iS7_PS2_PiS9_S9_21rocsparse_index_base_20rocsparse_diag_type_20rocsparse_direction_b ; -- Begin function _ZN9rocsparseL19bsrsv_upper_generalILj128ELj64ELb0EdEEviNS_24const_host_device_scalarIT2_EEPKiS5_PKS2_iS7_PS2_PiS9_S9_21rocsparse_index_base_20rocsparse_diag_type_20rocsparse_direction_b
	.p2align	8
	.type	_ZN9rocsparseL19bsrsv_upper_generalILj128ELj64ELb0EdEEviNS_24const_host_device_scalarIT2_EEPKiS5_PKS2_iS7_PS2_PiS9_S9_21rocsparse_index_base_20rocsparse_diag_type_20rocsparse_direction_b,@function
_ZN9rocsparseL19bsrsv_upper_generalILj128ELj64ELb0EdEEviNS_24const_host_device_scalarIT2_EEPKiS5_PKS2_iS7_PS2_PiS9_S9_21rocsparse_index_base_20rocsparse_diag_type_20rocsparse_direction_b: ; @_ZN9rocsparseL19bsrsv_upper_generalILj128ELj64ELb0EdEEviNS_24const_host_device_scalarIT2_EEPKiS5_PKS2_iS7_PS2_PiS9_S9_21rocsparse_index_base_20rocsparse_diag_type_20rocsparse_direction_b
; %bb.0:
	s_load_dwordx4 s[16:19], s[4:5], 0x58
	s_load_dwordx2 s[0:1], s[4:5], 0x8
	s_waitcnt lgkmcnt(0)
	s_bitcmp1_b32 s19, 0
	s_cselect_b64 s[2:3], -1, 0
	v_mov_b32_e32 v5, s1
	s_and_b64 vcc, exec, s[2:3]
	v_mov_b32_e32 v4, s0
	s_cbranch_vccnz .LBB41_2
; %bb.1:
	v_mov_b32_e32 v2, s1
	v_mov_b32_e32 v1, s0
	flat_load_dwordx2 v[4:5], v[1:2]
.LBB41_2:
	s_load_dword s19, s[4:5], 0x0
	s_lshl_b32 s0, s6, 1
	v_lshrrev_b32_e32 v1, 6, v0
	s_and_b32 s0, s0, 0x3fffffe
	v_or_b32_e32 v1, s0, v1
	s_waitcnt lgkmcnt(0)
	v_cmp_gt_i32_e32 vcc, s19, v1
	s_and_saveexec_b64 s[0:1], vcc
	s_cbranch_execz .LBB41_45
; %bb.3:
	s_load_dwordx8 s[8:15], s[4:5], 0x38
	v_lshlrev_b32_e32 v1, 2, v1
	s_load_dword s33, s[4:5], 0x28
	v_and_b32_e32 v0, 63, v0
	s_waitcnt lgkmcnt(0)
	global_load_dword v1, v1, s[12:13]
	s_load_dwordx4 s[0:3], s[4:5], 0x10
	s_load_dwordx2 s[6:7], s[4:5], 0x20
	s_waitcnt lgkmcnt(0)
	v_mov_b32_e32 v7, s1
	s_waitcnt vmcnt(0)
	v_ashrrev_i32_e32 v2, 31, v1
	v_lshlrev_b64 v[2:3], 2, v[1:2]
	v_add_co_u32_e32 v6, vcc, s0, v2
	v_addc_co_u32_e32 v7, vcc, v7, v3, vcc
	global_load_dwordx2 v[6:7], v[6:7], off
	v_cmp_gt_i32_e64 s[0:1], s33, v0
	s_and_saveexec_b64 s[12:13], s[0:1]
	s_cbranch_execz .LBB41_6
; %bb.4:
	v_mad_u64_u32 v[8:9], s[20:21], v1, s33, v[0:1]
	s_load_dwordx2 s[4:5], s[4:5], 0x30
	v_mov_b32_e32 v12, s9
	v_ashrrev_i32_e32 v9, 31, v8
	v_lshlrev_b64 v[10:11], 3, v[8:9]
	s_waitcnt lgkmcnt(0)
	v_mov_b32_e32 v9, s5
	v_add_co_u32_e32 v8, vcc, s4, v10
	v_addc_co_u32_e32 v9, vcc, v9, v11, vcc
	v_add_co_u32_e32 v10, vcc, s8, v10
	v_addc_co_u32_e32 v11, vcc, v12, v11, vcc
	s_mov_b64 s[4:5], 0
	v_mov_b32_e32 v12, v0
.LBB41_5:                               ; =>This Inner Loop Header: Depth=1
	global_load_dwordx2 v[13:14], v[8:9], off
	v_add_co_u32_e32 v8, vcc, 0x200, v8
	v_add_u32_e32 v12, 64, v12
	v_addc_co_u32_e32 v9, vcc, 0, v9, vcc
	v_cmp_le_i32_e32 vcc, s33, v12
	s_or_b64 s[4:5], vcc, s[4:5]
	s_waitcnt vmcnt(0)
	v_mul_f64 v[13:14], v[4:5], v[13:14]
	global_store_dwordx2 v[10:11], v[13:14], off
	v_add_co_u32_e32 v10, vcc, 0x200, v10
	v_addc_co_u32_e32 v11, vcc, 0, v11, vcc
	s_andn2_b64 exec, exec, s[4:5]
	s_cbranch_execnz .LBB41_5
.LBB41_6:
	s_or_b64 exec, exec, s[12:13]
	v_mul_lo_u32 v11, v1, s33
	s_waitcnt vmcnt(0)
	v_subrev_u32_e32 v12, s16, v6
	v_xad_u32 v4, s16, -1, v7
	v_cmp_ge_i32_e32 vcc, v4, v12
	v_mov_b32_e32 v5, s19
	s_and_saveexec_b64 s[4:5], vcc
	s_cbranch_execz .LBB41_24
; %bb.7:
	v_mad_u64_u32 v[5:6], s[12:13], s33, v4, v[0:1]
	s_cmp_lg_u32 s18, 0
	s_cselect_b64 s[12:13], -1, 0
	v_mul_lo_u32 v13, s33, v5
	s_mul_i32 s19, s33, s33
	s_lshl_b32 s34, s33, 6
	s_mov_b64 s[20:21], 0
	v_mov_b32_e32 v14, s3
                                        ; implicit-def: $sgpr22_sgpr23
	s_branch .LBB41_10
.LBB41_8:                               ;   in Loop: Header=BB41_10 Depth=1
	s_or_b64 exec, exec, s[26:27]
	v_cmp_le_i32_e32 vcc, v4, v12
	v_add_u32_e32 v6, -1, v4
	s_andn2_b64 s[22:23], s[22:23], exec
	s_and_b64 s[26:27], vcc, exec
	v_subrev_u32_e32 v13, s19, v13
	s_or_b64 s[22:23], s[22:23], s[26:27]
	v_mov_b32_e32 v4, v6
.LBB41_9:                               ;   in Loop: Header=BB41_10 Depth=1
	s_or_b64 exec, exec, s[24:25]
	s_and_b64 s[24:25], exec, s[22:23]
	s_or_b64 s[20:21], s[24:25], s[20:21]
	s_andn2_b64 exec, exec, s[20:21]
	s_cbranch_execz .LBB41_23
.LBB41_10:                              ; =>This Loop Header: Depth=1
                                        ;     Child Loop BB41_13 Depth 2
                                        ;     Child Loop BB41_17 Depth 2
                                        ;       Child Loop BB41_19 Depth 3
	v_ashrrev_i32_e32 v5, 31, v4
	v_lshlrev_b64 v[5:6], 2, v[4:5]
	s_or_b64 s[22:23], s[22:23], exec
	v_add_co_u32_e32 v5, vcc, s2, v5
	v_addc_co_u32_e32 v6, vcc, v14, v6, vcc
	global_load_dword v5, v[5:6], off
	s_waitcnt vmcnt(0)
	v_subrev_u32_e32 v5, s16, v5
	v_cmp_gt_i32_e32 vcc, v5, v1
	s_and_saveexec_b64 s[24:25], vcc
	s_cbranch_execz .LBB41_9
; %bb.11:                               ;   in Loop: Header=BB41_10 Depth=1
	v_ashrrev_i32_e32 v6, 31, v5
	v_lshlrev_b64 v[6:7], 2, v[5:6]
	v_mov_b32_e32 v8, s11
	v_add_co_u32_e32 v6, vcc, s10, v6
	v_addc_co_u32_e32 v7, vcc, v8, v7, vcc
	global_load_dword v8, v[6:7], off glc
	s_waitcnt vmcnt(0)
	v_cmp_eq_u32_e32 vcc, 0, v8
	s_and_saveexec_b64 s[26:27], vcc
	s_cbranch_execz .LBB41_14
; %bb.12:                               ;   in Loop: Header=BB41_10 Depth=1
	s_mov_b64 s[28:29], 0
.LBB41_13:                              ;   Parent Loop BB41_10 Depth=1
                                        ; =>  This Inner Loop Header: Depth=2
	global_load_dword v8, v[6:7], off glc
	s_waitcnt vmcnt(0)
	v_cmp_ne_u32_e32 vcc, 0, v8
	s_or_b64 s[28:29], vcc, s[28:29]
	s_andn2_b64 exec, exec, s[28:29]
	s_cbranch_execnz .LBB41_13
.LBB41_14:                              ;   in Loop: Header=BB41_10 Depth=1
	s_or_b64 exec, exec, s[26:27]
	buffer_wbinvl1_vol
	s_and_saveexec_b64 s[26:27], s[0:1]
	s_cbranch_execz .LBB41_8
; %bb.15:                               ;   in Loop: Header=BB41_10 Depth=1
	v_mul_lo_u32 v15, v4, s33
	v_mul_lo_u32 v16, v5, s33
	s_mov_b64 s[28:29], 0
	v_mov_b32_e32 v17, v13
	v_mov_b32_e32 v6, v0
	s_branch .LBB41_17
.LBB41_16:                              ;   in Loop: Header=BB41_17 Depth=2
	v_add_u32_e32 v9, v6, v11
	v_ashrrev_i32_e32 v10, 31, v9
	v_lshlrev_b64 v[9:10], 3, v[9:10]
	v_mov_b32_e32 v18, s9
	v_add_co_u32_e32 v9, vcc, s8, v9
	v_addc_co_u32_e32 v10, vcc, v18, v10, vcc
	global_load_dwordx2 v[18:19], v[9:10], off
	v_add_u32_e32 v6, 64, v6
	v_cmp_le_i32_e32 vcc, s33, v6
	s_or_b64 s[28:29], vcc, s[28:29]
	v_add_u32_e32 v17, s34, v17
	s_waitcnt vmcnt(0)
	v_add_f64 v[7:8], v[18:19], -v[7:8]
	global_store_dwordx2 v[9:10], v[7:8], off
	s_andn2_b64 exec, exec, s[28:29]
	s_cbranch_execz .LBB41_8
.LBB41_17:                              ;   Parent Loop BB41_10 Depth=1
                                        ; =>  This Loop Header: Depth=2
                                        ;       Child Loop BB41_19 Depth 3
	v_mov_b32_e32 v7, 0
	v_mov_b32_e32 v8, 0
	s_mov_b32 s3, 0
	s_branch .LBB41_19
.LBB41_18:                              ;   in Loop: Header=BB41_19 Depth=3
	v_ashrrev_i32_e32 v10, 31, v9
	v_lshlrev_b64 v[9:10], 3, v[9:10]
	v_mov_b32_e32 v18, s7
	v_add_co_u32_e32 v9, vcc, s6, v9
	v_addc_co_u32_e32 v10, vcc, v18, v10, vcc
	v_add_u32_e32 v18, s3, v16
	v_ashrrev_i32_e32 v19, 31, v18
	v_lshlrev_b64 v[18:19], 3, v[18:19]
	v_mov_b32_e32 v20, s9
	v_add_co_u32_e32 v18, vcc, s8, v18
	v_addc_co_u32_e32 v19, vcc, v20, v19, vcc
	global_load_dwordx2 v[9:10], v[9:10], off
	s_add_i32 s3, s3, 1
	global_load_dwordx2 v[18:19], v[18:19], off
	s_cmp_eq_u32 s33, s3
	s_waitcnt vmcnt(0)
	v_fma_f64 v[7:8], v[9:10], v[18:19], v[7:8]
	s_cbranch_scc1 .LBB41_16
.LBB41_19:                              ;   Parent Loop BB41_10 Depth=1
                                        ;     Parent Loop BB41_17 Depth=2
                                        ; =>    This Inner Loop Header: Depth=3
	s_and_b64 vcc, exec, s[12:13]
	s_cbranch_vccz .LBB41_21
; %bb.20:                               ;   in Loop: Header=BB41_19 Depth=3
	v_add_u32_e32 v9, s3, v15
	v_mad_u64_u32 v[9:10], s[30:31], v9, s33, v[6:7]
	s_cbranch_execnz .LBB41_18
	s_branch .LBB41_22
.LBB41_21:                              ;   in Loop: Header=BB41_19 Depth=3
                                        ; implicit-def: $vgpr9
.LBB41_22:                              ;   in Loop: Header=BB41_19 Depth=3
	v_add_u32_e32 v9, s3, v17
	s_branch .LBB41_18
.LBB41_23:
	s_or_b64 exec, exec, s[20:21]
.LBB41_24:
	s_or_b64 exec, exec, s[4:5]
	s_cmp_gt_i32 s33, 0
	v_cmp_eq_u32_e32 vcc, v5, v1
	s_cselect_b64 s[0:1], -1, 0
	s_and_b64 s[4:5], s[0:1], vcc
	s_mov_b64 s[0:1], 0
	s_and_saveexec_b64 s[2:3], s[4:5]
	s_cbranch_execz .LBB41_39
; %bb.25:
	v_mul_lo_u32 v10, v4, s33
	s_cmp_eq_u32 s17, 0
	s_cselect_b64 s[0:1], -1, 0
	s_cmp_lg_u32 s18, 0
	v_add_u32_e32 v4, v10, v0
	v_mul_lo_u32 v4, s33, v4
	s_mov_b64 s[20:21], 0
	s_cselect_b64 s[4:5], -1, 0
	s_lshl_b32 s17, s33, 6
	v_add3_u32 v12, v4, s33, -1
	v_cndmask_b32_e64 v4, 0, 1, s[0:1]
	v_cmp_ne_u32_e64 s[0:1], 1, v4
	v_mov_b32_e32 v13, s9
                                        ; implicit-def: $sgpr12_sgpr13
	s_mov_b32 s22, s33
.LBB41_26:                              ; =>This Loop Header: Depth=1
                                        ;     Child Loop BB41_33 Depth 2
	v_mov_b32_e32 v6, 0
	v_mov_b32_e32 v7, 0x3ff00000
	s_and_b64 vcc, exec, s[0:1]
	s_add_i32 s23, s22, -1
	s_cbranch_vccnz .LBB41_28
; %bb.27:                               ;   in Loop: Header=BB41_26 Depth=1
	s_waitcnt vmcnt(0)
	v_add_u32_e32 v4, s23, v10
	v_mul_lo_u32 v4, v4, s33
	v_mov_b32_e32 v6, s7
	v_add_u32_e32 v4, s23, v4
	v_ashrrev_i32_e32 v5, 31, v4
	v_lshlrev_b64 v[4:5], 3, v[4:5]
	v_add_co_u32_e32 v4, vcc, s6, v4
	v_addc_co_u32_e32 v5, vcc, v6, v5, vcc
	global_load_dwordx2 v[6:7], v[4:5], off
.LBB41_28:                              ;   in Loop: Header=BB41_26 Depth=1
	s_ashr_i32 s18, s22, 31
	s_waitcnt vmcnt(0)
	v_mov_b32_e32 v5, s18
	v_ashrrev_i32_e32 v8, 31, v11
	v_add_co_u32_e32 v4, vcc, s22, v11
	v_addc_co_u32_e32 v5, vcc, v5, v8, vcc
	v_lshlrev_b64 v[4:5], 3, v[4:5]
	s_or_b64 s[12:13], s[12:13], exec
	v_add_co_u32_e32 v8, vcc, s8, v4
	v_addc_co_u32_e32 v9, vcc, v13, v5, vcc
	global_load_dwordx2 v[4:5], v[8:9], off offset:-8
	s_waitcnt vmcnt(1)
	v_cmp_neq_f64_e32 vcc, 0, v[6:7]
	s_and_saveexec_b64 s[18:19], vcc
	s_cbranch_execz .LBB41_30
; %bb.29:                               ;   in Loop: Header=BB41_26 Depth=1
	s_waitcnt vmcnt(0)
	v_div_scale_f64 v[14:15], s[24:25], v[6:7], v[6:7], v[4:5]
	s_andn2_b64 s[12:13], s[12:13], exec
	s_and_b64 s[20:21], s[20:21], exec
	s_or_b64 s[12:13], s[12:13], s[20:21]
	v_rcp_f64_e32 v[16:17], v[14:15]
	v_fma_f64 v[18:19], -v[14:15], v[16:17], 1.0
	v_fma_f64 v[16:17], v[16:17], v[18:19], v[16:17]
	v_div_scale_f64 v[18:19], vcc, v[4:5], v[6:7], v[4:5]
	v_fma_f64 v[20:21], -v[14:15], v[16:17], 1.0
	v_fma_f64 v[16:17], v[16:17], v[20:21], v[16:17]
	v_mul_f64 v[20:21], v[18:19], v[16:17]
	v_fma_f64 v[14:15], -v[14:15], v[20:21], v[18:19]
	v_div_fmas_f64 v[14:15], v[14:15], v[16:17], v[20:21]
	v_div_fixup_f64 v[4:5], v[14:15], v[6:7], v[4:5]
	global_store_dwordx2 v[8:9], v[4:5], off offset:-8
.LBB41_30:                              ;   in Loop: Header=BB41_26 Depth=1
	s_or_b64 exec, exec, s[18:19]
	v_cmp_gt_i32_e32 vcc, s23, v0
	s_and_saveexec_b64 s[18:19], vcc
	s_cbranch_execz .LBB41_35
; %bb.31:                               ;   in Loop: Header=BB41_26 Depth=1
	v_add_u32_e32 v6, s23, v10
	v_mul_lo_u32 v8, v6, s33
	s_mov_b64 s[20:21], 0
	v_mov_b32_e32 v9, v12
	v_mov_b32_e32 v14, v0
	s_branch .LBB41_33
.LBB41_32:                              ;   in Loop: Header=BB41_33 Depth=2
	v_ashrrev_i32_e32 v7, 31, v6
	v_lshlrev_b64 v[6:7], 3, v[6:7]
	v_mov_b32_e32 v15, s7
	v_add_co_u32_e32 v6, vcc, s6, v6
	v_addc_co_u32_e32 v7, vcc, v15, v7, vcc
	v_add_u32_e32 v15, v11, v14
	v_ashrrev_i32_e32 v16, 31, v15
	v_lshlrev_b64 v[15:16], 3, v[15:16]
	v_mov_b32_e32 v17, s9
	v_add_co_u32_e32 v15, vcc, s8, v15
	v_addc_co_u32_e32 v16, vcc, v17, v16, vcc
	global_load_dwordx2 v[6:7], v[6:7], off
	v_add_u32_e32 v14, 64, v14
	global_load_dwordx2 v[17:18], v[15:16], off
	v_cmp_le_i32_e32 vcc, s23, v14
	s_or_b64 s[20:21], vcc, s[20:21]
	v_add_u32_e32 v9, s17, v9
	s_waitcnt vmcnt(0)
	v_fma_f64 v[6:7], -v[4:5], v[6:7], v[17:18]
	global_store_dwordx2 v[15:16], v[6:7], off
	s_andn2_b64 exec, exec, s[20:21]
	s_cbranch_execz .LBB41_35
.LBB41_33:                              ;   Parent Loop BB41_26 Depth=1
                                        ; =>  This Inner Loop Header: Depth=2
	s_andn2_b64 vcc, exec, s[4:5]
	v_mov_b32_e32 v6, v9
	s_cbranch_vccnz .LBB41_32
; %bb.34:                               ;   in Loop: Header=BB41_33 Depth=2
	v_add_u32_e32 v6, v14, v8
	s_branch .LBB41_32
.LBB41_35:                              ;   in Loop: Header=BB41_26 Depth=1
	s_or_b64 exec, exec, s[18:19]
; %bb.36:                               ;   in Loop: Header=BB41_26 Depth=1
	s_cmp_lt_i32 s22, 2
	v_add_u32_e32 v12, -1, v12
	s_cbranch_scc1 .LBB41_38
; %bb.37:                               ;   in Loop: Header=BB41_26 Depth=1
	s_mov_b64 s[20:21], s[12:13]
	s_mov_b32 s22, s23
	s_branch .LBB41_26
.LBB41_38:
	s_and_b64 s[0:1], s[12:13], exec
.LBB41_39:
	s_or_b64 exec, exec, s[2:3]
	v_cmp_eq_u32_e32 vcc, 0, v0
	s_and_b64 exec, exec, vcc
	s_cbranch_execz .LBB41_45
; %bb.40:
	v_mov_b32_e32 v0, s11
	v_add_co_u32_e32 v2, vcc, s10, v2
	v_addc_co_u32_e32 v3, vcc, v0, v3, vcc
	v_mov_b32_e32 v0, 1
	s_waitcnt vmcnt(0)
	global_store_dword v[2:3], v0, off
	s_and_b64 exec, exec, s[0:1]
	s_cbranch_execz .LBB41_45
; %bb.41:
	s_mov_b64 s[0:1], exec
	v_add_u32_e32 v0, s16, v1
	s_brev_b32 s2, -2
.LBB41_42:                              ; =>This Inner Loop Header: Depth=1
	s_ff1_i32_b64 s3, s[0:1]
	v_readlane_b32 s6, v0, s3
	s_lshl_b64 s[4:5], 1, s3
	s_min_i32 s2, s2, s6
	s_andn2_b64 s[0:1], s[0:1], s[4:5]
	s_cmp_lg_u64 s[0:1], 0
	s_cbranch_scc1 .LBB41_42
; %bb.43:
	v_mbcnt_lo_u32_b32 v0, exec_lo, 0
	v_mbcnt_hi_u32_b32 v0, exec_hi, v0
	v_cmp_eq_u32_e32 vcc, 0, v0
	s_and_saveexec_b64 s[0:1], vcc
	s_xor_b64 s[0:1], exec, s[0:1]
	s_cbranch_execz .LBB41_45
; %bb.44:
	v_mov_b32_e32 v0, 0
	v_mov_b32_e32 v1, s2
	global_atomic_smin v0, v1, s[14:15]
.LBB41_45:
	s_endpgm
	.section	.rodata,"a",@progbits
	.p2align	6, 0x0
	.amdhsa_kernel _ZN9rocsparseL19bsrsv_upper_generalILj128ELj64ELb0EdEEviNS_24const_host_device_scalarIT2_EEPKiS5_PKS2_iS7_PS2_PiS9_S9_21rocsparse_index_base_20rocsparse_diag_type_20rocsparse_direction_b
		.amdhsa_group_segment_fixed_size 0
		.amdhsa_private_segment_fixed_size 0
		.amdhsa_kernarg_size 104
		.amdhsa_user_sgpr_count 6
		.amdhsa_user_sgpr_private_segment_buffer 1
		.amdhsa_user_sgpr_dispatch_ptr 0
		.amdhsa_user_sgpr_queue_ptr 0
		.amdhsa_user_sgpr_kernarg_segment_ptr 1
		.amdhsa_user_sgpr_dispatch_id 0
		.amdhsa_user_sgpr_flat_scratch_init 0
		.amdhsa_user_sgpr_private_segment_size 0
		.amdhsa_uses_dynamic_stack 0
		.amdhsa_system_sgpr_private_segment_wavefront_offset 0
		.amdhsa_system_sgpr_workgroup_id_x 1
		.amdhsa_system_sgpr_workgroup_id_y 0
		.amdhsa_system_sgpr_workgroup_id_z 0
		.amdhsa_system_sgpr_workgroup_info 0
		.amdhsa_system_vgpr_workitem_id 0
		.amdhsa_next_free_vgpr 22
		.amdhsa_next_free_sgpr 35
		.amdhsa_reserve_vcc 1
		.amdhsa_reserve_flat_scratch 0
		.amdhsa_float_round_mode_32 0
		.amdhsa_float_round_mode_16_64 0
		.amdhsa_float_denorm_mode_32 3
		.amdhsa_float_denorm_mode_16_64 3
		.amdhsa_dx10_clamp 1
		.amdhsa_ieee_mode 1
		.amdhsa_fp16_overflow 0
		.amdhsa_exception_fp_ieee_invalid_op 0
		.amdhsa_exception_fp_denorm_src 0
		.amdhsa_exception_fp_ieee_div_zero 0
		.amdhsa_exception_fp_ieee_overflow 0
		.amdhsa_exception_fp_ieee_underflow 0
		.amdhsa_exception_fp_ieee_inexact 0
		.amdhsa_exception_int_div_zero 0
	.end_amdhsa_kernel
	.section	.text._ZN9rocsparseL19bsrsv_upper_generalILj128ELj64ELb0EdEEviNS_24const_host_device_scalarIT2_EEPKiS5_PKS2_iS7_PS2_PiS9_S9_21rocsparse_index_base_20rocsparse_diag_type_20rocsparse_direction_b,"axG",@progbits,_ZN9rocsparseL19bsrsv_upper_generalILj128ELj64ELb0EdEEviNS_24const_host_device_scalarIT2_EEPKiS5_PKS2_iS7_PS2_PiS9_S9_21rocsparse_index_base_20rocsparse_diag_type_20rocsparse_direction_b,comdat
.Lfunc_end41:
	.size	_ZN9rocsparseL19bsrsv_upper_generalILj128ELj64ELb0EdEEviNS_24const_host_device_scalarIT2_EEPKiS5_PKS2_iS7_PS2_PiS9_S9_21rocsparse_index_base_20rocsparse_diag_type_20rocsparse_direction_b, .Lfunc_end41-_ZN9rocsparseL19bsrsv_upper_generalILj128ELj64ELb0EdEEviNS_24const_host_device_scalarIT2_EEPKiS5_PKS2_iS7_PS2_PiS9_S9_21rocsparse_index_base_20rocsparse_diag_type_20rocsparse_direction_b
                                        ; -- End function
	.set _ZN9rocsparseL19bsrsv_upper_generalILj128ELj64ELb0EdEEviNS_24const_host_device_scalarIT2_EEPKiS5_PKS2_iS7_PS2_PiS9_S9_21rocsparse_index_base_20rocsparse_diag_type_20rocsparse_direction_b.num_vgpr, 22
	.set _ZN9rocsparseL19bsrsv_upper_generalILj128ELj64ELb0EdEEviNS_24const_host_device_scalarIT2_EEPKiS5_PKS2_iS7_PS2_PiS9_S9_21rocsparse_index_base_20rocsparse_diag_type_20rocsparse_direction_b.num_agpr, 0
	.set _ZN9rocsparseL19bsrsv_upper_generalILj128ELj64ELb0EdEEviNS_24const_host_device_scalarIT2_EEPKiS5_PKS2_iS7_PS2_PiS9_S9_21rocsparse_index_base_20rocsparse_diag_type_20rocsparse_direction_b.numbered_sgpr, 35
	.set _ZN9rocsparseL19bsrsv_upper_generalILj128ELj64ELb0EdEEviNS_24const_host_device_scalarIT2_EEPKiS5_PKS2_iS7_PS2_PiS9_S9_21rocsparse_index_base_20rocsparse_diag_type_20rocsparse_direction_b.num_named_barrier, 0
	.set _ZN9rocsparseL19bsrsv_upper_generalILj128ELj64ELb0EdEEviNS_24const_host_device_scalarIT2_EEPKiS5_PKS2_iS7_PS2_PiS9_S9_21rocsparse_index_base_20rocsparse_diag_type_20rocsparse_direction_b.private_seg_size, 0
	.set _ZN9rocsparseL19bsrsv_upper_generalILj128ELj64ELb0EdEEviNS_24const_host_device_scalarIT2_EEPKiS5_PKS2_iS7_PS2_PiS9_S9_21rocsparse_index_base_20rocsparse_diag_type_20rocsparse_direction_b.uses_vcc, 1
	.set _ZN9rocsparseL19bsrsv_upper_generalILj128ELj64ELb0EdEEviNS_24const_host_device_scalarIT2_EEPKiS5_PKS2_iS7_PS2_PiS9_S9_21rocsparse_index_base_20rocsparse_diag_type_20rocsparse_direction_b.uses_flat_scratch, 0
	.set _ZN9rocsparseL19bsrsv_upper_generalILj128ELj64ELb0EdEEviNS_24const_host_device_scalarIT2_EEPKiS5_PKS2_iS7_PS2_PiS9_S9_21rocsparse_index_base_20rocsparse_diag_type_20rocsparse_direction_b.has_dyn_sized_stack, 0
	.set _ZN9rocsparseL19bsrsv_upper_generalILj128ELj64ELb0EdEEviNS_24const_host_device_scalarIT2_EEPKiS5_PKS2_iS7_PS2_PiS9_S9_21rocsparse_index_base_20rocsparse_diag_type_20rocsparse_direction_b.has_recursion, 0
	.set _ZN9rocsparseL19bsrsv_upper_generalILj128ELj64ELb0EdEEviNS_24const_host_device_scalarIT2_EEPKiS5_PKS2_iS7_PS2_PiS9_S9_21rocsparse_index_base_20rocsparse_diag_type_20rocsparse_direction_b.has_indirect_call, 0
	.section	.AMDGPU.csdata,"",@progbits
; Kernel info:
; codeLenInByte = 1616
; TotalNumSgprs: 39
; NumVgprs: 22
; ScratchSize: 0
; MemoryBound: 0
; FloatMode: 240
; IeeeMode: 1
; LDSByteSize: 0 bytes/workgroup (compile time only)
; SGPRBlocks: 4
; VGPRBlocks: 5
; NumSGPRsForWavesPerEU: 39
; NumVGPRsForWavesPerEU: 22
; Occupancy: 10
; WaveLimiterHint : 1
; COMPUTE_PGM_RSRC2:SCRATCH_EN: 0
; COMPUTE_PGM_RSRC2:USER_SGPR: 6
; COMPUTE_PGM_RSRC2:TRAP_HANDLER: 0
; COMPUTE_PGM_RSRC2:TGID_X_EN: 1
; COMPUTE_PGM_RSRC2:TGID_Y_EN: 0
; COMPUTE_PGM_RSRC2:TGID_Z_EN: 0
; COMPUTE_PGM_RSRC2:TIDIG_COMP_CNT: 0
	.section	.text._ZN9rocsparseL19bsrsv_lower_generalILj128ELj32ELb1EdEEviNS_24const_host_device_scalarIT2_EEPKiS5_PKS2_iS7_PS2_PiS9_S9_21rocsparse_index_base_20rocsparse_diag_type_20rocsparse_direction_b,"axG",@progbits,_ZN9rocsparseL19bsrsv_lower_generalILj128ELj32ELb1EdEEviNS_24const_host_device_scalarIT2_EEPKiS5_PKS2_iS7_PS2_PiS9_S9_21rocsparse_index_base_20rocsparse_diag_type_20rocsparse_direction_b,comdat
	.globl	_ZN9rocsparseL19bsrsv_lower_generalILj128ELj32ELb1EdEEviNS_24const_host_device_scalarIT2_EEPKiS5_PKS2_iS7_PS2_PiS9_S9_21rocsparse_index_base_20rocsparse_diag_type_20rocsparse_direction_b ; -- Begin function _ZN9rocsparseL19bsrsv_lower_generalILj128ELj32ELb1EdEEviNS_24const_host_device_scalarIT2_EEPKiS5_PKS2_iS7_PS2_PiS9_S9_21rocsparse_index_base_20rocsparse_diag_type_20rocsparse_direction_b
	.p2align	8
	.type	_ZN9rocsparseL19bsrsv_lower_generalILj128ELj32ELb1EdEEviNS_24const_host_device_scalarIT2_EEPKiS5_PKS2_iS7_PS2_PiS9_S9_21rocsparse_index_base_20rocsparse_diag_type_20rocsparse_direction_b,@function
_ZN9rocsparseL19bsrsv_lower_generalILj128ELj32ELb1EdEEviNS_24const_host_device_scalarIT2_EEPKiS5_PKS2_iS7_PS2_PiS9_S9_21rocsparse_index_base_20rocsparse_diag_type_20rocsparse_direction_b: ; @_ZN9rocsparseL19bsrsv_lower_generalILj128ELj32ELb1EdEEviNS_24const_host_device_scalarIT2_EEPKiS5_PKS2_iS7_PS2_PiS9_S9_21rocsparse_index_base_20rocsparse_diag_type_20rocsparse_direction_b
; %bb.0:
	s_load_dwordx4 s[16:19], s[4:5], 0x58
	s_load_dwordx2 s[0:1], s[4:5], 0x8
	s_waitcnt lgkmcnt(0)
	s_bitcmp1_b32 s19, 0
	s_cselect_b64 s[2:3], -1, 0
	v_mov_b32_e32 v5, s1
	s_and_b64 vcc, exec, s[2:3]
	v_mov_b32_e32 v4, s0
	s_cbranch_vccnz .LBB42_2
; %bb.1:
	v_mov_b32_e32 v2, s1
	v_mov_b32_e32 v1, s0
	flat_load_dwordx2 v[4:5], v[1:2]
.LBB42_2:
	s_load_dword s19, s[4:5], 0x0
	s_lshl_b32 s0, s6, 2
	v_lshrrev_b32_e32 v1, 5, v0
	s_and_b32 s0, s0, 0x7fffffc
	v_or_b32_e32 v1, s0, v1
	s_waitcnt lgkmcnt(0)
	v_cmp_gt_i32_e32 vcc, s19, v1
	s_and_saveexec_b64 s[0:1], vcc
	s_cbranch_execz .LBB42_45
; %bb.3:
	s_load_dwordx8 s[8:15], s[4:5], 0x38
	v_lshlrev_b32_e32 v1, 2, v1
	s_load_dword s33, s[4:5], 0x28
	v_and_b32_e32 v0, 31, v0
	s_waitcnt lgkmcnt(0)
	global_load_dword v1, v1, s[12:13]
	s_load_dwordx4 s[0:3], s[4:5], 0x10
	s_load_dwordx2 s[6:7], s[4:5], 0x20
	s_waitcnt lgkmcnt(0)
	v_mov_b32_e32 v7, s1
	s_waitcnt vmcnt(0)
	v_ashrrev_i32_e32 v2, 31, v1
	v_lshlrev_b64 v[2:3], 2, v[1:2]
	v_add_co_u32_e32 v6, vcc, s0, v2
	v_addc_co_u32_e32 v7, vcc, v7, v3, vcc
	global_load_dwordx2 v[6:7], v[6:7], off
	v_cmp_gt_i32_e64 s[0:1], s33, v0
	s_and_saveexec_b64 s[12:13], s[0:1]
	s_cbranch_execz .LBB42_6
; %bb.4:
	v_mad_u64_u32 v[8:9], s[20:21], v1, s33, v[0:1]
	s_load_dwordx2 s[4:5], s[4:5], 0x30
	v_mov_b32_e32 v12, s9
	v_ashrrev_i32_e32 v9, 31, v8
	v_lshlrev_b64 v[10:11], 3, v[8:9]
	s_waitcnt lgkmcnt(0)
	v_mov_b32_e32 v9, s5
	v_add_co_u32_e32 v8, vcc, s4, v10
	v_addc_co_u32_e32 v9, vcc, v9, v11, vcc
	v_add_co_u32_e32 v10, vcc, s8, v10
	v_addc_co_u32_e32 v11, vcc, v12, v11, vcc
	s_mov_b64 s[4:5], 0
	v_mov_b32_e32 v12, v0
.LBB42_5:                               ; =>This Inner Loop Header: Depth=1
	global_load_dwordx2 v[13:14], v[8:9], off
	v_add_co_u32_e32 v8, vcc, 0x100, v8
	v_add_u32_e32 v12, 32, v12
	v_addc_co_u32_e32 v9, vcc, 0, v9, vcc
	v_cmp_le_i32_e32 vcc, s33, v12
	s_or_b64 s[4:5], vcc, s[4:5]
	s_waitcnt vmcnt(0)
	v_mul_f64 v[13:14], v[4:5], v[13:14]
	global_store_dwordx2 v[10:11], v[13:14], off
	v_add_co_u32_e32 v10, vcc, 0x100, v10
	v_addc_co_u32_e32 v11, vcc, 0, v11, vcc
	s_andn2_b64 exec, exec, s[4:5]
	s_cbranch_execnz .LBB42_5
.LBB42_6:
	s_or_b64 exec, exec, s[12:13]
	v_mul_lo_u32 v11, v1, s33
	s_waitcnt vmcnt(0)
	v_subrev_u32_e32 v4, s16, v6
	v_cmp_lt_i32_e32 vcc, v6, v7
	v_mov_b32_e32 v5, s19
	s_and_saveexec_b64 s[4:5], vcc
	s_cbranch_execz .LBB42_26
; %bb.7:
	v_mad_u64_u32 v[5:6], s[12:13], s33, v4, v[0:1]
	s_cmp_lg_u32 s18, 0
	v_subrev_u32_e32 v12, s16, v7
	v_mul_lo_u32 v13, s33, v5
	s_cselect_b64 s[12:13], -1, 0
	s_mul_i32 s19, s33, s33
	s_lshl_b32 s34, s33, 5
	s_mov_b64 s[20:21], 0
	v_mov_b32_e32 v14, s3
                                        ; implicit-def: $sgpr22_sgpr23
	s_branch .LBB42_10
.LBB42_8:                               ;   in Loop: Header=BB42_10 Depth=1
	s_or_b64 exec, exec, s[26:27]
	v_add_u32_e32 v4, 1, v4
	v_cmp_ge_i32_e32 vcc, v4, v12
	s_andn2_b64 s[22:23], s[22:23], exec
	s_and_b64 s[26:27], vcc, exec
	v_add_u32_e32 v13, s19, v13
	s_or_b64 s[22:23], s[22:23], s[26:27]
.LBB42_9:                               ;   in Loop: Header=BB42_10 Depth=1
	s_or_b64 exec, exec, s[24:25]
	s_and_b64 s[24:25], exec, s[22:23]
	s_or_b64 s[20:21], s[24:25], s[20:21]
	s_andn2_b64 exec, exec, s[20:21]
	s_cbranch_execz .LBB42_25
.LBB42_10:                              ; =>This Loop Header: Depth=1
                                        ;     Child Loop BB42_14 Depth 2
                                        ;       Child Loop BB42_15 Depth 3
                                        ;     Child Loop BB42_19 Depth 2
                                        ;       Child Loop BB42_21 Depth 3
	v_ashrrev_i32_e32 v5, 31, v4
	v_lshlrev_b64 v[5:6], 2, v[4:5]
	s_or_b64 s[22:23], s[22:23], exec
	v_add_co_u32_e32 v5, vcc, s2, v5
	v_addc_co_u32_e32 v6, vcc, v14, v6, vcc
	global_load_dword v5, v[5:6], off
	s_waitcnt vmcnt(0)
	v_subrev_u32_e32 v5, s16, v5
	v_cmp_lt_i32_e32 vcc, v5, v1
	s_and_saveexec_b64 s[24:25], vcc
	s_cbranch_execz .LBB42_9
; %bb.11:                               ;   in Loop: Header=BB42_10 Depth=1
	v_ashrrev_i32_e32 v6, 31, v5
	v_lshlrev_b64 v[6:7], 2, v[5:6]
	v_mov_b32_e32 v8, s11
	v_add_co_u32_e32 v6, vcc, s10, v6
	v_addc_co_u32_e32 v7, vcc, v8, v7, vcc
	global_load_dword v8, v[6:7], off glc
	s_waitcnt vmcnt(0)
	v_cmp_eq_u32_e32 vcc, 0, v8
	s_and_saveexec_b64 s[26:27], vcc
	s_cbranch_execz .LBB42_16
; %bb.12:                               ;   in Loop: Header=BB42_10 Depth=1
	s_mov_b32 s3, 0
	s_mov_b64 s[28:29], 0
	s_branch .LBB42_14
.LBB42_13:                              ;   in Loop: Header=BB42_14 Depth=2
	global_load_dword v8, v[6:7], off glc
	s_cmpk_lt_u32 s3, 0xf43
	s_cselect_b64 s[30:31], -1, 0
	s_cmp_lg_u64 s[30:31], 0
	s_addc_u32 s3, s3, 0
	s_waitcnt vmcnt(0)
	v_cmp_ne_u32_e32 vcc, 0, v8
	s_or_b64 s[28:29], vcc, s[28:29]
	s_andn2_b64 exec, exec, s[28:29]
	s_cbranch_execz .LBB42_16
.LBB42_14:                              ;   Parent Loop BB42_10 Depth=1
                                        ; =>  This Loop Header: Depth=2
                                        ;       Child Loop BB42_15 Depth 3
	s_cmp_eq_u32 s3, 0
	s_mov_b32 s30, s3
	s_cbranch_scc1 .LBB42_13
.LBB42_15:                              ;   Parent Loop BB42_10 Depth=1
                                        ;     Parent Loop BB42_14 Depth=2
                                        ; =>    This Inner Loop Header: Depth=3
	s_add_i32 s30, s30, -1
	s_cmp_eq_u32 s30, 0
	s_sleep 1
	s_cbranch_scc0 .LBB42_15
	s_branch .LBB42_13
.LBB42_16:                              ;   in Loop: Header=BB42_10 Depth=1
	s_or_b64 exec, exec, s[26:27]
	buffer_wbinvl1_vol
	s_and_saveexec_b64 s[26:27], s[0:1]
	s_cbranch_execz .LBB42_8
; %bb.17:                               ;   in Loop: Header=BB42_10 Depth=1
	v_mul_lo_u32 v15, v4, s33
	v_mul_lo_u32 v16, v5, s33
	s_mov_b64 s[28:29], 0
	v_mov_b32_e32 v17, v13
	v_mov_b32_e32 v6, v0
	s_branch .LBB42_19
.LBB42_18:                              ;   in Loop: Header=BB42_19 Depth=2
	v_add_u32_e32 v9, v6, v11
	v_ashrrev_i32_e32 v10, 31, v9
	v_lshlrev_b64 v[9:10], 3, v[9:10]
	v_mov_b32_e32 v18, s9
	v_add_co_u32_e32 v9, vcc, s8, v9
	v_addc_co_u32_e32 v10, vcc, v18, v10, vcc
	global_load_dwordx2 v[18:19], v[9:10], off
	v_add_u32_e32 v6, 32, v6
	v_cmp_le_i32_e32 vcc, s33, v6
	s_or_b64 s[28:29], vcc, s[28:29]
	v_add_u32_e32 v17, s34, v17
	s_waitcnt vmcnt(0)
	v_add_f64 v[7:8], v[18:19], -v[7:8]
	global_store_dwordx2 v[9:10], v[7:8], off
	s_andn2_b64 exec, exec, s[28:29]
	s_cbranch_execz .LBB42_8
.LBB42_19:                              ;   Parent Loop BB42_10 Depth=1
                                        ; =>  This Loop Header: Depth=2
                                        ;       Child Loop BB42_21 Depth 3
	v_mov_b32_e32 v7, 0
	v_mov_b32_e32 v8, 0
	s_mov_b32 s3, 0
	s_branch .LBB42_21
.LBB42_20:                              ;   in Loop: Header=BB42_21 Depth=3
	v_ashrrev_i32_e32 v10, 31, v9
	v_lshlrev_b64 v[9:10], 3, v[9:10]
	v_mov_b32_e32 v18, s7
	v_add_co_u32_e32 v9, vcc, s6, v9
	v_addc_co_u32_e32 v10, vcc, v18, v10, vcc
	v_add_u32_e32 v18, s3, v16
	v_ashrrev_i32_e32 v19, 31, v18
	v_lshlrev_b64 v[18:19], 3, v[18:19]
	v_mov_b32_e32 v20, s9
	v_add_co_u32_e32 v18, vcc, s8, v18
	v_addc_co_u32_e32 v19, vcc, v20, v19, vcc
	global_load_dwordx2 v[9:10], v[9:10], off
	s_add_i32 s3, s3, 1
	global_load_dwordx2 v[18:19], v[18:19], off
	s_cmp_eq_u32 s33, s3
	s_waitcnt vmcnt(0)
	v_fma_f64 v[7:8], v[9:10], v[18:19], v[7:8]
	s_cbranch_scc1 .LBB42_18
.LBB42_21:                              ;   Parent Loop BB42_10 Depth=1
                                        ;     Parent Loop BB42_19 Depth=2
                                        ; =>    This Inner Loop Header: Depth=3
	s_and_b64 vcc, exec, s[12:13]
	s_cbranch_vccz .LBB42_23
; %bb.22:                               ;   in Loop: Header=BB42_21 Depth=3
	v_add_u32_e32 v9, s3, v15
	v_mad_u64_u32 v[9:10], s[30:31], v9, s33, v[6:7]
	s_cbranch_execnz .LBB42_20
	s_branch .LBB42_24
.LBB42_23:                              ;   in Loop: Header=BB42_21 Depth=3
                                        ; implicit-def: $vgpr9
.LBB42_24:                              ;   in Loop: Header=BB42_21 Depth=3
	v_add_u32_e32 v9, s3, v17
	s_branch .LBB42_20
.LBB42_25:
	s_or_b64 exec, exec, s[20:21]
.LBB42_26:
	s_or_b64 exec, exec, s[4:5]
	s_cmp_gt_i32 s33, 0
	v_cmp_eq_u32_e32 vcc, v5, v1
	s_cselect_b64 s[0:1], -1, 0
	s_mov_b32 s22, 0
	s_and_b64 s[4:5], s[0:1], vcc
	s_mov_b64 s[0:1], 0
	s_and_saveexec_b64 s[2:3], s[4:5]
	s_cbranch_execz .LBB42_39
; %bb.27:
	v_mul_lo_u32 v10, v4, s33
	s_cmp_eq_u32 s17, 0
	s_cselect_b64 s[0:1], -1, 0
	s_cmp_lg_u32 s18, 0
	v_add_u32_e32 v4, v10, v0
	v_mul_lo_u32 v4, s33, v4
	s_cselect_b64 s[4:5], -1, 0
	s_add_i32 s17, s33, 1
	s_lshl_b32 s23, s33, 5
	v_add_u32_e32 v12, s33, v4
	v_cndmask_b32_e64 v4, 0, 1, s[0:1]
	s_mov_b64 s[18:19], 0
	v_cmp_ne_u32_e64 s[0:1], 1, v4
	v_mov_b32_e32 v13, s9
                                        ; implicit-def: $sgpr12_sgpr13
	v_mov_b32_e32 v6, 0
	v_mov_b32_e32 v7, 0x3ff00000
	s_and_b64 vcc, exec, s[0:1]
	s_cbranch_vccnz .LBB42_29
.LBB42_28:
	s_waitcnt vmcnt(0)
	v_add_u32_e32 v4, s22, v10
	v_mul_lo_u32 v4, v4, s33
	v_mov_b32_e32 v6, s7
	v_add_u32_e32 v4, s22, v4
	v_ashrrev_i32_e32 v5, 31, v4
	v_lshlrev_b64 v[4:5], 3, v[4:5]
	v_add_co_u32_e32 v4, vcc, s6, v4
	v_addc_co_u32_e32 v5, vcc, v6, v5, vcc
	global_load_dwordx2 v[6:7], v[4:5], off
.LBB42_29:                              ; =>This Loop Header: Depth=1
                                        ;     Child Loop BB42_34 Depth 2
	s_waitcnt vmcnt(0)
	v_add_u32_e32 v4, s22, v11
	v_ashrrev_i32_e32 v5, 31, v4
	v_lshlrev_b64 v[4:5], 3, v[4:5]
	s_or_b64 s[12:13], s[12:13], exec
	v_add_co_u32_e32 v8, vcc, s8, v4
	v_addc_co_u32_e32 v9, vcc, v13, v5, vcc
	global_load_dwordx2 v[4:5], v[8:9], off
	s_waitcnt vmcnt(1)
	v_cmp_neq_f64_e32 vcc, 0, v[6:7]
	s_and_saveexec_b64 s[20:21], vcc
	s_cbranch_execz .LBB42_31
; %bb.30:                               ;   in Loop: Header=BB42_29 Depth=1
	s_waitcnt vmcnt(0)
	v_div_scale_f64 v[14:15], s[24:25], v[6:7], v[6:7], v[4:5]
	s_andn2_b64 s[12:13], s[12:13], exec
	s_and_b64 s[18:19], s[18:19], exec
	s_or_b64 s[12:13], s[12:13], s[18:19]
	v_rcp_f64_e32 v[16:17], v[14:15]
	v_fma_f64 v[18:19], -v[14:15], v[16:17], 1.0
	v_fma_f64 v[16:17], v[16:17], v[18:19], v[16:17]
	v_div_scale_f64 v[18:19], vcc, v[4:5], v[6:7], v[4:5]
	v_fma_f64 v[20:21], -v[14:15], v[16:17], 1.0
	v_fma_f64 v[16:17], v[16:17], v[20:21], v[16:17]
	v_mul_f64 v[20:21], v[18:19], v[16:17]
	v_fma_f64 v[14:15], -v[14:15], v[20:21], v[18:19]
	v_div_fmas_f64 v[14:15], v[14:15], v[16:17], v[20:21]
	v_div_fixup_f64 v[4:5], v[14:15], v[6:7], v[4:5]
	global_store_dwordx2 v[8:9], v[4:5], off
.LBB42_31:                              ;   in Loop: Header=BB42_29 Depth=1
	s_or_b64 exec, exec, s[20:21]
	v_add_u32_e32 v6, 1, v0
	v_add_u32_e32 v8, s22, v6
	v_cmp_gt_i32_e32 vcc, s33, v8
	s_and_saveexec_b64 s[18:19], vcc
	s_cbranch_execz .LBB42_36
; %bb.32:                               ;   in Loop: Header=BB42_29 Depth=1
	v_add_u32_e32 v6, s22, v10
	v_mul_lo_u32 v9, v6, s33
	s_mov_b64 s[20:21], 0
	v_mov_b32_e32 v14, v12
	s_branch .LBB42_34
.LBB42_33:                              ;   in Loop: Header=BB42_34 Depth=2
	v_ashrrev_i32_e32 v7, 31, v6
	v_lshlrev_b64 v[6:7], 3, v[6:7]
	v_mov_b32_e32 v15, s7
	v_add_co_u32_e32 v6, vcc, s6, v6
	v_addc_co_u32_e32 v7, vcc, v15, v7, vcc
	v_add_u32_e32 v15, v11, v8
	v_ashrrev_i32_e32 v16, 31, v15
	v_lshlrev_b64 v[15:16], 3, v[15:16]
	v_mov_b32_e32 v17, s9
	v_add_co_u32_e32 v15, vcc, s8, v15
	v_addc_co_u32_e32 v16, vcc, v17, v16, vcc
	global_load_dwordx2 v[6:7], v[6:7], off
	v_add_u32_e32 v8, 32, v8
	global_load_dwordx2 v[17:18], v[15:16], off
	v_cmp_le_i32_e32 vcc, s33, v8
	s_or_b64 s[20:21], vcc, s[20:21]
	v_add_u32_e32 v14, s23, v14
	s_waitcnt vmcnt(0)
	v_fma_f64 v[6:7], -v[4:5], v[6:7], v[17:18]
	global_store_dwordx2 v[15:16], v[6:7], off
	s_andn2_b64 exec, exec, s[20:21]
	s_cbranch_execz .LBB42_36
.LBB42_34:                              ;   Parent Loop BB42_29 Depth=1
                                        ; =>  This Inner Loop Header: Depth=2
	s_andn2_b64 vcc, exec, s[4:5]
	v_mov_b32_e32 v6, v14
	s_cbranch_vccnz .LBB42_33
; %bb.35:                               ;   in Loop: Header=BB42_34 Depth=2
	v_add_u32_e32 v6, v8, v9
	s_branch .LBB42_33
.LBB42_36:                              ;   in Loop: Header=BB42_29 Depth=1
	s_or_b64 exec, exec, s[18:19]
	s_add_i32 s22, s22, 1
	s_cmp_eq_u32 s22, s33
	v_add_u32_e32 v12, s17, v12
	s_cbranch_scc1 .LBB42_38
; %bb.37:                               ;   in Loop: Header=BB42_29 Depth=1
	s_mov_b64 s[18:19], s[12:13]
	v_mov_b32_e32 v6, 0
	v_mov_b32_e32 v7, 0x3ff00000
	s_and_b64 vcc, exec, s[0:1]
	s_cbranch_vccnz .LBB42_29
	s_branch .LBB42_28
.LBB42_38:
	s_and_b64 s[0:1], s[12:13], exec
.LBB42_39:
	s_or_b64 exec, exec, s[2:3]
	v_cmp_eq_u32_e32 vcc, 0, v0
	s_and_b64 exec, exec, vcc
	s_cbranch_execz .LBB42_45
; %bb.40:
	v_mov_b32_e32 v0, s11
	v_add_co_u32_e32 v2, vcc, s10, v2
	v_addc_co_u32_e32 v3, vcc, v0, v3, vcc
	v_mov_b32_e32 v0, 1
	s_waitcnt vmcnt(0)
	global_store_dword v[2:3], v0, off
	s_and_b64 exec, exec, s[0:1]
	s_cbranch_execz .LBB42_45
; %bb.41:
	s_mov_b64 s[0:1], exec
	v_add_u32_e32 v0, s16, v1
	s_brev_b32 s2, -2
.LBB42_42:                              ; =>This Inner Loop Header: Depth=1
	s_ff1_i32_b64 s3, s[0:1]
	v_readlane_b32 s6, v0, s3
	s_lshl_b64 s[4:5], 1, s3
	s_min_i32 s2, s2, s6
	s_andn2_b64 s[0:1], s[0:1], s[4:5]
	s_cmp_lg_u64 s[0:1], 0
	s_cbranch_scc1 .LBB42_42
; %bb.43:
	v_mbcnt_lo_u32_b32 v0, exec_lo, 0
	v_mbcnt_hi_u32_b32 v0, exec_hi, v0
	v_cmp_eq_u32_e32 vcc, 0, v0
	s_and_saveexec_b64 s[0:1], vcc
	s_xor_b64 s[0:1], exec, s[0:1]
	s_cbranch_execz .LBB42_45
; %bb.44:
	v_mov_b32_e32 v0, 0
	v_mov_b32_e32 v1, s2
	global_atomic_smin v0, v1, s[14:15]
.LBB42_45:
	s_endpgm
	.section	.rodata,"a",@progbits
	.p2align	6, 0x0
	.amdhsa_kernel _ZN9rocsparseL19bsrsv_lower_generalILj128ELj32ELb1EdEEviNS_24const_host_device_scalarIT2_EEPKiS5_PKS2_iS7_PS2_PiS9_S9_21rocsparse_index_base_20rocsparse_diag_type_20rocsparse_direction_b
		.amdhsa_group_segment_fixed_size 0
		.amdhsa_private_segment_fixed_size 0
		.amdhsa_kernarg_size 104
		.amdhsa_user_sgpr_count 6
		.amdhsa_user_sgpr_private_segment_buffer 1
		.amdhsa_user_sgpr_dispatch_ptr 0
		.amdhsa_user_sgpr_queue_ptr 0
		.amdhsa_user_sgpr_kernarg_segment_ptr 1
		.amdhsa_user_sgpr_dispatch_id 0
		.amdhsa_user_sgpr_flat_scratch_init 0
		.amdhsa_user_sgpr_private_segment_size 0
		.amdhsa_uses_dynamic_stack 0
		.amdhsa_system_sgpr_private_segment_wavefront_offset 0
		.amdhsa_system_sgpr_workgroup_id_x 1
		.amdhsa_system_sgpr_workgroup_id_y 0
		.amdhsa_system_sgpr_workgroup_id_z 0
		.amdhsa_system_sgpr_workgroup_info 0
		.amdhsa_system_vgpr_workitem_id 0
		.amdhsa_next_free_vgpr 22
		.amdhsa_next_free_sgpr 35
		.amdhsa_reserve_vcc 1
		.amdhsa_reserve_flat_scratch 0
		.amdhsa_float_round_mode_32 0
		.amdhsa_float_round_mode_16_64 0
		.amdhsa_float_denorm_mode_32 3
		.amdhsa_float_denorm_mode_16_64 3
		.amdhsa_dx10_clamp 1
		.amdhsa_ieee_mode 1
		.amdhsa_fp16_overflow 0
		.amdhsa_exception_fp_ieee_invalid_op 0
		.amdhsa_exception_fp_denorm_src 0
		.amdhsa_exception_fp_ieee_div_zero 0
		.amdhsa_exception_fp_ieee_overflow 0
		.amdhsa_exception_fp_ieee_underflow 0
		.amdhsa_exception_fp_ieee_inexact 0
		.amdhsa_exception_int_div_zero 0
	.end_amdhsa_kernel
	.section	.text._ZN9rocsparseL19bsrsv_lower_generalILj128ELj32ELb1EdEEviNS_24const_host_device_scalarIT2_EEPKiS5_PKS2_iS7_PS2_PiS9_S9_21rocsparse_index_base_20rocsparse_diag_type_20rocsparse_direction_b,"axG",@progbits,_ZN9rocsparseL19bsrsv_lower_generalILj128ELj32ELb1EdEEviNS_24const_host_device_scalarIT2_EEPKiS5_PKS2_iS7_PS2_PiS9_S9_21rocsparse_index_base_20rocsparse_diag_type_20rocsparse_direction_b,comdat
.Lfunc_end42:
	.size	_ZN9rocsparseL19bsrsv_lower_generalILj128ELj32ELb1EdEEviNS_24const_host_device_scalarIT2_EEPKiS5_PKS2_iS7_PS2_PiS9_S9_21rocsparse_index_base_20rocsparse_diag_type_20rocsparse_direction_b, .Lfunc_end42-_ZN9rocsparseL19bsrsv_lower_generalILj128ELj32ELb1EdEEviNS_24const_host_device_scalarIT2_EEPKiS5_PKS2_iS7_PS2_PiS9_S9_21rocsparse_index_base_20rocsparse_diag_type_20rocsparse_direction_b
                                        ; -- End function
	.set _ZN9rocsparseL19bsrsv_lower_generalILj128ELj32ELb1EdEEviNS_24const_host_device_scalarIT2_EEPKiS5_PKS2_iS7_PS2_PiS9_S9_21rocsparse_index_base_20rocsparse_diag_type_20rocsparse_direction_b.num_vgpr, 22
	.set _ZN9rocsparseL19bsrsv_lower_generalILj128ELj32ELb1EdEEviNS_24const_host_device_scalarIT2_EEPKiS5_PKS2_iS7_PS2_PiS9_S9_21rocsparse_index_base_20rocsparse_diag_type_20rocsparse_direction_b.num_agpr, 0
	.set _ZN9rocsparseL19bsrsv_lower_generalILj128ELj32ELb1EdEEviNS_24const_host_device_scalarIT2_EEPKiS5_PKS2_iS7_PS2_PiS9_S9_21rocsparse_index_base_20rocsparse_diag_type_20rocsparse_direction_b.numbered_sgpr, 35
	.set _ZN9rocsparseL19bsrsv_lower_generalILj128ELj32ELb1EdEEviNS_24const_host_device_scalarIT2_EEPKiS5_PKS2_iS7_PS2_PiS9_S9_21rocsparse_index_base_20rocsparse_diag_type_20rocsparse_direction_b.num_named_barrier, 0
	.set _ZN9rocsparseL19bsrsv_lower_generalILj128ELj32ELb1EdEEviNS_24const_host_device_scalarIT2_EEPKiS5_PKS2_iS7_PS2_PiS9_S9_21rocsparse_index_base_20rocsparse_diag_type_20rocsparse_direction_b.private_seg_size, 0
	.set _ZN9rocsparseL19bsrsv_lower_generalILj128ELj32ELb1EdEEviNS_24const_host_device_scalarIT2_EEPKiS5_PKS2_iS7_PS2_PiS9_S9_21rocsparse_index_base_20rocsparse_diag_type_20rocsparse_direction_b.uses_vcc, 1
	.set _ZN9rocsparseL19bsrsv_lower_generalILj128ELj32ELb1EdEEviNS_24const_host_device_scalarIT2_EEPKiS5_PKS2_iS7_PS2_PiS9_S9_21rocsparse_index_base_20rocsparse_diag_type_20rocsparse_direction_b.uses_flat_scratch, 0
	.set _ZN9rocsparseL19bsrsv_lower_generalILj128ELj32ELb1EdEEviNS_24const_host_device_scalarIT2_EEPKiS5_PKS2_iS7_PS2_PiS9_S9_21rocsparse_index_base_20rocsparse_diag_type_20rocsparse_direction_b.has_dyn_sized_stack, 0
	.set _ZN9rocsparseL19bsrsv_lower_generalILj128ELj32ELb1EdEEviNS_24const_host_device_scalarIT2_EEPKiS5_PKS2_iS7_PS2_PiS9_S9_21rocsparse_index_base_20rocsparse_diag_type_20rocsparse_direction_b.has_recursion, 0
	.set _ZN9rocsparseL19bsrsv_lower_generalILj128ELj32ELb1EdEEviNS_24const_host_device_scalarIT2_EEPKiS5_PKS2_iS7_PS2_PiS9_S9_21rocsparse_index_base_20rocsparse_diag_type_20rocsparse_direction_b.has_indirect_call, 0
	.section	.AMDGPU.csdata,"",@progbits
; Kernel info:
; codeLenInByte = 1672
; TotalNumSgprs: 39
; NumVgprs: 22
; ScratchSize: 0
; MemoryBound: 0
; FloatMode: 240
; IeeeMode: 1
; LDSByteSize: 0 bytes/workgroup (compile time only)
; SGPRBlocks: 4
; VGPRBlocks: 5
; NumSGPRsForWavesPerEU: 39
; NumVGPRsForWavesPerEU: 22
; Occupancy: 10
; WaveLimiterHint : 1
; COMPUTE_PGM_RSRC2:SCRATCH_EN: 0
; COMPUTE_PGM_RSRC2:USER_SGPR: 6
; COMPUTE_PGM_RSRC2:TRAP_HANDLER: 0
; COMPUTE_PGM_RSRC2:TGID_X_EN: 1
; COMPUTE_PGM_RSRC2:TGID_Y_EN: 0
; COMPUTE_PGM_RSRC2:TGID_Z_EN: 0
; COMPUTE_PGM_RSRC2:TIDIG_COMP_CNT: 0
	.section	.text._ZN9rocsparseL19bsrsv_lower_generalILj128ELj32ELb0EdEEviNS_24const_host_device_scalarIT2_EEPKiS5_PKS2_iS7_PS2_PiS9_S9_21rocsparse_index_base_20rocsparse_diag_type_20rocsparse_direction_b,"axG",@progbits,_ZN9rocsparseL19bsrsv_lower_generalILj128ELj32ELb0EdEEviNS_24const_host_device_scalarIT2_EEPKiS5_PKS2_iS7_PS2_PiS9_S9_21rocsparse_index_base_20rocsparse_diag_type_20rocsparse_direction_b,comdat
	.globl	_ZN9rocsparseL19bsrsv_lower_generalILj128ELj32ELb0EdEEviNS_24const_host_device_scalarIT2_EEPKiS5_PKS2_iS7_PS2_PiS9_S9_21rocsparse_index_base_20rocsparse_diag_type_20rocsparse_direction_b ; -- Begin function _ZN9rocsparseL19bsrsv_lower_generalILj128ELj32ELb0EdEEviNS_24const_host_device_scalarIT2_EEPKiS5_PKS2_iS7_PS2_PiS9_S9_21rocsparse_index_base_20rocsparse_diag_type_20rocsparse_direction_b
	.p2align	8
	.type	_ZN9rocsparseL19bsrsv_lower_generalILj128ELj32ELb0EdEEviNS_24const_host_device_scalarIT2_EEPKiS5_PKS2_iS7_PS2_PiS9_S9_21rocsparse_index_base_20rocsparse_diag_type_20rocsparse_direction_b,@function
_ZN9rocsparseL19bsrsv_lower_generalILj128ELj32ELb0EdEEviNS_24const_host_device_scalarIT2_EEPKiS5_PKS2_iS7_PS2_PiS9_S9_21rocsparse_index_base_20rocsparse_diag_type_20rocsparse_direction_b: ; @_ZN9rocsparseL19bsrsv_lower_generalILj128ELj32ELb0EdEEviNS_24const_host_device_scalarIT2_EEPKiS5_PKS2_iS7_PS2_PiS9_S9_21rocsparse_index_base_20rocsparse_diag_type_20rocsparse_direction_b
; %bb.0:
	s_load_dwordx4 s[16:19], s[4:5], 0x58
	s_load_dwordx2 s[0:1], s[4:5], 0x8
	s_waitcnt lgkmcnt(0)
	s_bitcmp1_b32 s19, 0
	s_cselect_b64 s[2:3], -1, 0
	v_mov_b32_e32 v5, s1
	s_and_b64 vcc, exec, s[2:3]
	v_mov_b32_e32 v4, s0
	s_cbranch_vccnz .LBB43_2
; %bb.1:
	v_mov_b32_e32 v2, s1
	v_mov_b32_e32 v1, s0
	flat_load_dwordx2 v[4:5], v[1:2]
.LBB43_2:
	s_load_dword s19, s[4:5], 0x0
	s_lshl_b32 s0, s6, 2
	v_lshrrev_b32_e32 v1, 5, v0
	s_and_b32 s0, s0, 0x7fffffc
	v_or_b32_e32 v1, s0, v1
	s_waitcnt lgkmcnt(0)
	v_cmp_gt_i32_e32 vcc, s19, v1
	s_and_saveexec_b64 s[0:1], vcc
	s_cbranch_execz .LBB43_43
; %bb.3:
	s_load_dwordx8 s[8:15], s[4:5], 0x38
	v_lshlrev_b32_e32 v1, 2, v1
	s_load_dword s33, s[4:5], 0x28
	v_and_b32_e32 v0, 31, v0
	s_waitcnt lgkmcnt(0)
	global_load_dword v1, v1, s[12:13]
	s_load_dwordx4 s[0:3], s[4:5], 0x10
	s_load_dwordx2 s[6:7], s[4:5], 0x20
	s_waitcnt lgkmcnt(0)
	v_mov_b32_e32 v7, s1
	s_waitcnt vmcnt(0)
	v_ashrrev_i32_e32 v2, 31, v1
	v_lshlrev_b64 v[2:3], 2, v[1:2]
	v_add_co_u32_e32 v6, vcc, s0, v2
	v_addc_co_u32_e32 v7, vcc, v7, v3, vcc
	global_load_dwordx2 v[6:7], v[6:7], off
	v_cmp_gt_i32_e64 s[0:1], s33, v0
	s_and_saveexec_b64 s[12:13], s[0:1]
	s_cbranch_execz .LBB43_6
; %bb.4:
	v_mad_u64_u32 v[8:9], s[20:21], v1, s33, v[0:1]
	s_load_dwordx2 s[4:5], s[4:5], 0x30
	v_mov_b32_e32 v12, s9
	v_ashrrev_i32_e32 v9, 31, v8
	v_lshlrev_b64 v[10:11], 3, v[8:9]
	s_waitcnt lgkmcnt(0)
	v_mov_b32_e32 v9, s5
	v_add_co_u32_e32 v8, vcc, s4, v10
	v_addc_co_u32_e32 v9, vcc, v9, v11, vcc
	v_add_co_u32_e32 v10, vcc, s8, v10
	v_addc_co_u32_e32 v11, vcc, v12, v11, vcc
	s_mov_b64 s[4:5], 0
	v_mov_b32_e32 v12, v0
.LBB43_5:                               ; =>This Inner Loop Header: Depth=1
	global_load_dwordx2 v[13:14], v[8:9], off
	v_add_co_u32_e32 v8, vcc, 0x100, v8
	v_add_u32_e32 v12, 32, v12
	v_addc_co_u32_e32 v9, vcc, 0, v9, vcc
	v_cmp_le_i32_e32 vcc, s33, v12
	s_or_b64 s[4:5], vcc, s[4:5]
	s_waitcnt vmcnt(0)
	v_mul_f64 v[13:14], v[4:5], v[13:14]
	global_store_dwordx2 v[10:11], v[13:14], off
	v_add_co_u32_e32 v10, vcc, 0x100, v10
	v_addc_co_u32_e32 v11, vcc, 0, v11, vcc
	s_andn2_b64 exec, exec, s[4:5]
	s_cbranch_execnz .LBB43_5
.LBB43_6:
	s_or_b64 exec, exec, s[12:13]
	v_mul_lo_u32 v11, v1, s33
	s_waitcnt vmcnt(0)
	v_subrev_u32_e32 v4, s16, v6
	v_cmp_lt_i32_e32 vcc, v6, v7
	v_mov_b32_e32 v5, s19
	s_and_saveexec_b64 s[4:5], vcc
	s_cbranch_execz .LBB43_24
; %bb.7:
	v_mad_u64_u32 v[5:6], s[12:13], s33, v4, v[0:1]
	s_cmp_lg_u32 s18, 0
	v_subrev_u32_e32 v12, s16, v7
	v_mul_lo_u32 v13, s33, v5
	s_cselect_b64 s[12:13], -1, 0
	s_mul_i32 s19, s33, s33
	s_lshl_b32 s34, s33, 5
	s_mov_b64 s[20:21], 0
	v_mov_b32_e32 v14, s3
                                        ; implicit-def: $sgpr22_sgpr23
	s_branch .LBB43_10
.LBB43_8:                               ;   in Loop: Header=BB43_10 Depth=1
	s_or_b64 exec, exec, s[26:27]
	v_add_u32_e32 v4, 1, v4
	v_cmp_ge_i32_e32 vcc, v4, v12
	s_andn2_b64 s[22:23], s[22:23], exec
	s_and_b64 s[26:27], vcc, exec
	v_add_u32_e32 v13, s19, v13
	s_or_b64 s[22:23], s[22:23], s[26:27]
.LBB43_9:                               ;   in Loop: Header=BB43_10 Depth=1
	s_or_b64 exec, exec, s[24:25]
	s_and_b64 s[24:25], exec, s[22:23]
	s_or_b64 s[20:21], s[24:25], s[20:21]
	s_andn2_b64 exec, exec, s[20:21]
	s_cbranch_execz .LBB43_23
.LBB43_10:                              ; =>This Loop Header: Depth=1
                                        ;     Child Loop BB43_13 Depth 2
                                        ;     Child Loop BB43_17 Depth 2
                                        ;       Child Loop BB43_19 Depth 3
	v_ashrrev_i32_e32 v5, 31, v4
	v_lshlrev_b64 v[5:6], 2, v[4:5]
	s_or_b64 s[22:23], s[22:23], exec
	v_add_co_u32_e32 v5, vcc, s2, v5
	v_addc_co_u32_e32 v6, vcc, v14, v6, vcc
	global_load_dword v5, v[5:6], off
	s_waitcnt vmcnt(0)
	v_subrev_u32_e32 v5, s16, v5
	v_cmp_lt_i32_e32 vcc, v5, v1
	s_and_saveexec_b64 s[24:25], vcc
	s_cbranch_execz .LBB43_9
; %bb.11:                               ;   in Loop: Header=BB43_10 Depth=1
	v_ashrrev_i32_e32 v6, 31, v5
	v_lshlrev_b64 v[6:7], 2, v[5:6]
	v_mov_b32_e32 v8, s11
	v_add_co_u32_e32 v6, vcc, s10, v6
	v_addc_co_u32_e32 v7, vcc, v8, v7, vcc
	global_load_dword v8, v[6:7], off glc
	s_waitcnt vmcnt(0)
	v_cmp_eq_u32_e32 vcc, 0, v8
	s_and_saveexec_b64 s[26:27], vcc
	s_cbranch_execz .LBB43_14
; %bb.12:                               ;   in Loop: Header=BB43_10 Depth=1
	s_mov_b64 s[28:29], 0
.LBB43_13:                              ;   Parent Loop BB43_10 Depth=1
                                        ; =>  This Inner Loop Header: Depth=2
	global_load_dword v8, v[6:7], off glc
	s_waitcnt vmcnt(0)
	v_cmp_ne_u32_e32 vcc, 0, v8
	s_or_b64 s[28:29], vcc, s[28:29]
	s_andn2_b64 exec, exec, s[28:29]
	s_cbranch_execnz .LBB43_13
.LBB43_14:                              ;   in Loop: Header=BB43_10 Depth=1
	s_or_b64 exec, exec, s[26:27]
	buffer_wbinvl1_vol
	s_and_saveexec_b64 s[26:27], s[0:1]
	s_cbranch_execz .LBB43_8
; %bb.15:                               ;   in Loop: Header=BB43_10 Depth=1
	v_mul_lo_u32 v15, v4, s33
	v_mul_lo_u32 v16, v5, s33
	s_mov_b64 s[28:29], 0
	v_mov_b32_e32 v17, v13
	v_mov_b32_e32 v6, v0
	s_branch .LBB43_17
.LBB43_16:                              ;   in Loop: Header=BB43_17 Depth=2
	v_add_u32_e32 v9, v6, v11
	v_ashrrev_i32_e32 v10, 31, v9
	v_lshlrev_b64 v[9:10], 3, v[9:10]
	v_mov_b32_e32 v18, s9
	v_add_co_u32_e32 v9, vcc, s8, v9
	v_addc_co_u32_e32 v10, vcc, v18, v10, vcc
	global_load_dwordx2 v[18:19], v[9:10], off
	v_add_u32_e32 v6, 32, v6
	v_cmp_le_i32_e32 vcc, s33, v6
	s_or_b64 s[28:29], vcc, s[28:29]
	v_add_u32_e32 v17, s34, v17
	s_waitcnt vmcnt(0)
	v_add_f64 v[7:8], v[18:19], -v[7:8]
	global_store_dwordx2 v[9:10], v[7:8], off
	s_andn2_b64 exec, exec, s[28:29]
	s_cbranch_execz .LBB43_8
.LBB43_17:                              ;   Parent Loop BB43_10 Depth=1
                                        ; =>  This Loop Header: Depth=2
                                        ;       Child Loop BB43_19 Depth 3
	v_mov_b32_e32 v7, 0
	v_mov_b32_e32 v8, 0
	s_mov_b32 s3, 0
	s_branch .LBB43_19
.LBB43_18:                              ;   in Loop: Header=BB43_19 Depth=3
	v_ashrrev_i32_e32 v10, 31, v9
	v_lshlrev_b64 v[9:10], 3, v[9:10]
	v_mov_b32_e32 v18, s7
	v_add_co_u32_e32 v9, vcc, s6, v9
	v_addc_co_u32_e32 v10, vcc, v18, v10, vcc
	v_add_u32_e32 v18, s3, v16
	v_ashrrev_i32_e32 v19, 31, v18
	v_lshlrev_b64 v[18:19], 3, v[18:19]
	v_mov_b32_e32 v20, s9
	v_add_co_u32_e32 v18, vcc, s8, v18
	v_addc_co_u32_e32 v19, vcc, v20, v19, vcc
	global_load_dwordx2 v[9:10], v[9:10], off
	s_add_i32 s3, s3, 1
	global_load_dwordx2 v[18:19], v[18:19], off
	s_cmp_eq_u32 s33, s3
	s_waitcnt vmcnt(0)
	v_fma_f64 v[7:8], v[9:10], v[18:19], v[7:8]
	s_cbranch_scc1 .LBB43_16
.LBB43_19:                              ;   Parent Loop BB43_10 Depth=1
                                        ;     Parent Loop BB43_17 Depth=2
                                        ; =>    This Inner Loop Header: Depth=3
	s_and_b64 vcc, exec, s[12:13]
	s_cbranch_vccz .LBB43_21
; %bb.20:                               ;   in Loop: Header=BB43_19 Depth=3
	v_add_u32_e32 v9, s3, v15
	v_mad_u64_u32 v[9:10], s[30:31], v9, s33, v[6:7]
	s_cbranch_execnz .LBB43_18
	s_branch .LBB43_22
.LBB43_21:                              ;   in Loop: Header=BB43_19 Depth=3
                                        ; implicit-def: $vgpr9
.LBB43_22:                              ;   in Loop: Header=BB43_19 Depth=3
	v_add_u32_e32 v9, s3, v17
	s_branch .LBB43_18
.LBB43_23:
	s_or_b64 exec, exec, s[20:21]
.LBB43_24:
	s_or_b64 exec, exec, s[4:5]
	s_cmp_gt_i32 s33, 0
	v_cmp_eq_u32_e32 vcc, v5, v1
	s_cselect_b64 s[0:1], -1, 0
	s_mov_b32 s22, 0
	s_and_b64 s[4:5], s[0:1], vcc
	s_mov_b64 s[0:1], 0
	s_and_saveexec_b64 s[2:3], s[4:5]
	s_cbranch_execz .LBB43_37
; %bb.25:
	v_mul_lo_u32 v10, v4, s33
	s_cmp_eq_u32 s17, 0
	s_cselect_b64 s[0:1], -1, 0
	s_cmp_lg_u32 s18, 0
	v_add_u32_e32 v4, v10, v0
	v_mul_lo_u32 v4, s33, v4
	s_cselect_b64 s[4:5], -1, 0
	s_add_i32 s17, s33, 1
	s_lshl_b32 s23, s33, 5
	v_add_u32_e32 v12, s33, v4
	v_cndmask_b32_e64 v4, 0, 1, s[0:1]
	s_mov_b64 s[18:19], 0
	v_cmp_ne_u32_e64 s[0:1], 1, v4
	v_mov_b32_e32 v13, s9
                                        ; implicit-def: $sgpr12_sgpr13
	v_mov_b32_e32 v6, 0
	v_mov_b32_e32 v7, 0x3ff00000
	s_and_b64 vcc, exec, s[0:1]
	s_cbranch_vccnz .LBB43_27
.LBB43_26:
	s_waitcnt vmcnt(0)
	v_add_u32_e32 v4, s22, v10
	v_mul_lo_u32 v4, v4, s33
	v_mov_b32_e32 v6, s7
	v_add_u32_e32 v4, s22, v4
	v_ashrrev_i32_e32 v5, 31, v4
	v_lshlrev_b64 v[4:5], 3, v[4:5]
	v_add_co_u32_e32 v4, vcc, s6, v4
	v_addc_co_u32_e32 v5, vcc, v6, v5, vcc
	global_load_dwordx2 v[6:7], v[4:5], off
.LBB43_27:                              ; =>This Loop Header: Depth=1
                                        ;     Child Loop BB43_32 Depth 2
	s_waitcnt vmcnt(0)
	v_add_u32_e32 v4, s22, v11
	v_ashrrev_i32_e32 v5, 31, v4
	v_lshlrev_b64 v[4:5], 3, v[4:5]
	s_or_b64 s[12:13], s[12:13], exec
	v_add_co_u32_e32 v8, vcc, s8, v4
	v_addc_co_u32_e32 v9, vcc, v13, v5, vcc
	global_load_dwordx2 v[4:5], v[8:9], off
	s_waitcnt vmcnt(1)
	v_cmp_neq_f64_e32 vcc, 0, v[6:7]
	s_and_saveexec_b64 s[20:21], vcc
	s_cbranch_execz .LBB43_29
; %bb.28:                               ;   in Loop: Header=BB43_27 Depth=1
	s_waitcnt vmcnt(0)
	v_div_scale_f64 v[14:15], s[24:25], v[6:7], v[6:7], v[4:5]
	s_andn2_b64 s[12:13], s[12:13], exec
	s_and_b64 s[18:19], s[18:19], exec
	s_or_b64 s[12:13], s[12:13], s[18:19]
	v_rcp_f64_e32 v[16:17], v[14:15]
	v_fma_f64 v[18:19], -v[14:15], v[16:17], 1.0
	v_fma_f64 v[16:17], v[16:17], v[18:19], v[16:17]
	v_div_scale_f64 v[18:19], vcc, v[4:5], v[6:7], v[4:5]
	v_fma_f64 v[20:21], -v[14:15], v[16:17], 1.0
	v_fma_f64 v[16:17], v[16:17], v[20:21], v[16:17]
	v_mul_f64 v[20:21], v[18:19], v[16:17]
	v_fma_f64 v[14:15], -v[14:15], v[20:21], v[18:19]
	v_div_fmas_f64 v[14:15], v[14:15], v[16:17], v[20:21]
	v_div_fixup_f64 v[4:5], v[14:15], v[6:7], v[4:5]
	global_store_dwordx2 v[8:9], v[4:5], off
.LBB43_29:                              ;   in Loop: Header=BB43_27 Depth=1
	s_or_b64 exec, exec, s[20:21]
	v_add_u32_e32 v6, 1, v0
	v_add_u32_e32 v8, s22, v6
	v_cmp_gt_i32_e32 vcc, s33, v8
	s_and_saveexec_b64 s[18:19], vcc
	s_cbranch_execz .LBB43_34
; %bb.30:                               ;   in Loop: Header=BB43_27 Depth=1
	v_add_u32_e32 v6, s22, v10
	v_mul_lo_u32 v9, v6, s33
	s_mov_b64 s[20:21], 0
	v_mov_b32_e32 v14, v12
	s_branch .LBB43_32
.LBB43_31:                              ;   in Loop: Header=BB43_32 Depth=2
	v_ashrrev_i32_e32 v7, 31, v6
	v_lshlrev_b64 v[6:7], 3, v[6:7]
	v_mov_b32_e32 v15, s7
	v_add_co_u32_e32 v6, vcc, s6, v6
	v_addc_co_u32_e32 v7, vcc, v15, v7, vcc
	v_add_u32_e32 v15, v11, v8
	v_ashrrev_i32_e32 v16, 31, v15
	v_lshlrev_b64 v[15:16], 3, v[15:16]
	v_mov_b32_e32 v17, s9
	v_add_co_u32_e32 v15, vcc, s8, v15
	v_addc_co_u32_e32 v16, vcc, v17, v16, vcc
	global_load_dwordx2 v[6:7], v[6:7], off
	v_add_u32_e32 v8, 32, v8
	global_load_dwordx2 v[17:18], v[15:16], off
	v_cmp_le_i32_e32 vcc, s33, v8
	s_or_b64 s[20:21], vcc, s[20:21]
	v_add_u32_e32 v14, s23, v14
	s_waitcnt vmcnt(0)
	v_fma_f64 v[6:7], -v[4:5], v[6:7], v[17:18]
	global_store_dwordx2 v[15:16], v[6:7], off
	s_andn2_b64 exec, exec, s[20:21]
	s_cbranch_execz .LBB43_34
.LBB43_32:                              ;   Parent Loop BB43_27 Depth=1
                                        ; =>  This Inner Loop Header: Depth=2
	s_andn2_b64 vcc, exec, s[4:5]
	v_mov_b32_e32 v6, v14
	s_cbranch_vccnz .LBB43_31
; %bb.33:                               ;   in Loop: Header=BB43_32 Depth=2
	v_add_u32_e32 v6, v8, v9
	s_branch .LBB43_31
.LBB43_34:                              ;   in Loop: Header=BB43_27 Depth=1
	s_or_b64 exec, exec, s[18:19]
	s_add_i32 s22, s22, 1
	s_cmp_eq_u32 s22, s33
	v_add_u32_e32 v12, s17, v12
	s_cbranch_scc1 .LBB43_36
; %bb.35:                               ;   in Loop: Header=BB43_27 Depth=1
	s_mov_b64 s[18:19], s[12:13]
	v_mov_b32_e32 v6, 0
	v_mov_b32_e32 v7, 0x3ff00000
	s_and_b64 vcc, exec, s[0:1]
	s_cbranch_vccnz .LBB43_27
	s_branch .LBB43_26
.LBB43_36:
	s_and_b64 s[0:1], s[12:13], exec
.LBB43_37:
	s_or_b64 exec, exec, s[2:3]
	v_cmp_eq_u32_e32 vcc, 0, v0
	s_and_b64 exec, exec, vcc
	s_cbranch_execz .LBB43_43
; %bb.38:
	v_mov_b32_e32 v0, s11
	v_add_co_u32_e32 v2, vcc, s10, v2
	v_addc_co_u32_e32 v3, vcc, v0, v3, vcc
	v_mov_b32_e32 v0, 1
	s_waitcnt vmcnt(0)
	global_store_dword v[2:3], v0, off
	s_and_b64 exec, exec, s[0:1]
	s_cbranch_execz .LBB43_43
; %bb.39:
	s_mov_b64 s[0:1], exec
	v_add_u32_e32 v0, s16, v1
	s_brev_b32 s2, -2
.LBB43_40:                              ; =>This Inner Loop Header: Depth=1
	s_ff1_i32_b64 s3, s[0:1]
	v_readlane_b32 s6, v0, s3
	s_lshl_b64 s[4:5], 1, s3
	s_min_i32 s2, s2, s6
	s_andn2_b64 s[0:1], s[0:1], s[4:5]
	s_cmp_lg_u64 s[0:1], 0
	s_cbranch_scc1 .LBB43_40
; %bb.41:
	v_mbcnt_lo_u32_b32 v0, exec_lo, 0
	v_mbcnt_hi_u32_b32 v0, exec_hi, v0
	v_cmp_eq_u32_e32 vcc, 0, v0
	s_and_saveexec_b64 s[0:1], vcc
	s_xor_b64 s[0:1], exec, s[0:1]
	s_cbranch_execz .LBB43_43
; %bb.42:
	v_mov_b32_e32 v0, 0
	v_mov_b32_e32 v1, s2
	global_atomic_smin v0, v1, s[14:15]
.LBB43_43:
	s_endpgm
	.section	.rodata,"a",@progbits
	.p2align	6, 0x0
	.amdhsa_kernel _ZN9rocsparseL19bsrsv_lower_generalILj128ELj32ELb0EdEEviNS_24const_host_device_scalarIT2_EEPKiS5_PKS2_iS7_PS2_PiS9_S9_21rocsparse_index_base_20rocsparse_diag_type_20rocsparse_direction_b
		.amdhsa_group_segment_fixed_size 0
		.amdhsa_private_segment_fixed_size 0
		.amdhsa_kernarg_size 104
		.amdhsa_user_sgpr_count 6
		.amdhsa_user_sgpr_private_segment_buffer 1
		.amdhsa_user_sgpr_dispatch_ptr 0
		.amdhsa_user_sgpr_queue_ptr 0
		.amdhsa_user_sgpr_kernarg_segment_ptr 1
		.amdhsa_user_sgpr_dispatch_id 0
		.amdhsa_user_sgpr_flat_scratch_init 0
		.amdhsa_user_sgpr_private_segment_size 0
		.amdhsa_uses_dynamic_stack 0
		.amdhsa_system_sgpr_private_segment_wavefront_offset 0
		.amdhsa_system_sgpr_workgroup_id_x 1
		.amdhsa_system_sgpr_workgroup_id_y 0
		.amdhsa_system_sgpr_workgroup_id_z 0
		.amdhsa_system_sgpr_workgroup_info 0
		.amdhsa_system_vgpr_workitem_id 0
		.amdhsa_next_free_vgpr 22
		.amdhsa_next_free_sgpr 35
		.amdhsa_reserve_vcc 1
		.amdhsa_reserve_flat_scratch 0
		.amdhsa_float_round_mode_32 0
		.amdhsa_float_round_mode_16_64 0
		.amdhsa_float_denorm_mode_32 3
		.amdhsa_float_denorm_mode_16_64 3
		.amdhsa_dx10_clamp 1
		.amdhsa_ieee_mode 1
		.amdhsa_fp16_overflow 0
		.amdhsa_exception_fp_ieee_invalid_op 0
		.amdhsa_exception_fp_denorm_src 0
		.amdhsa_exception_fp_ieee_div_zero 0
		.amdhsa_exception_fp_ieee_overflow 0
		.amdhsa_exception_fp_ieee_underflow 0
		.amdhsa_exception_fp_ieee_inexact 0
		.amdhsa_exception_int_div_zero 0
	.end_amdhsa_kernel
	.section	.text._ZN9rocsparseL19bsrsv_lower_generalILj128ELj32ELb0EdEEviNS_24const_host_device_scalarIT2_EEPKiS5_PKS2_iS7_PS2_PiS9_S9_21rocsparse_index_base_20rocsparse_diag_type_20rocsparse_direction_b,"axG",@progbits,_ZN9rocsparseL19bsrsv_lower_generalILj128ELj32ELb0EdEEviNS_24const_host_device_scalarIT2_EEPKiS5_PKS2_iS7_PS2_PiS9_S9_21rocsparse_index_base_20rocsparse_diag_type_20rocsparse_direction_b,comdat
.Lfunc_end43:
	.size	_ZN9rocsparseL19bsrsv_lower_generalILj128ELj32ELb0EdEEviNS_24const_host_device_scalarIT2_EEPKiS5_PKS2_iS7_PS2_PiS9_S9_21rocsparse_index_base_20rocsparse_diag_type_20rocsparse_direction_b, .Lfunc_end43-_ZN9rocsparseL19bsrsv_lower_generalILj128ELj32ELb0EdEEviNS_24const_host_device_scalarIT2_EEPKiS5_PKS2_iS7_PS2_PiS9_S9_21rocsparse_index_base_20rocsparse_diag_type_20rocsparse_direction_b
                                        ; -- End function
	.set _ZN9rocsparseL19bsrsv_lower_generalILj128ELj32ELb0EdEEviNS_24const_host_device_scalarIT2_EEPKiS5_PKS2_iS7_PS2_PiS9_S9_21rocsparse_index_base_20rocsparse_diag_type_20rocsparse_direction_b.num_vgpr, 22
	.set _ZN9rocsparseL19bsrsv_lower_generalILj128ELj32ELb0EdEEviNS_24const_host_device_scalarIT2_EEPKiS5_PKS2_iS7_PS2_PiS9_S9_21rocsparse_index_base_20rocsparse_diag_type_20rocsparse_direction_b.num_agpr, 0
	.set _ZN9rocsparseL19bsrsv_lower_generalILj128ELj32ELb0EdEEviNS_24const_host_device_scalarIT2_EEPKiS5_PKS2_iS7_PS2_PiS9_S9_21rocsparse_index_base_20rocsparse_diag_type_20rocsparse_direction_b.numbered_sgpr, 35
	.set _ZN9rocsparseL19bsrsv_lower_generalILj128ELj32ELb0EdEEviNS_24const_host_device_scalarIT2_EEPKiS5_PKS2_iS7_PS2_PiS9_S9_21rocsparse_index_base_20rocsparse_diag_type_20rocsparse_direction_b.num_named_barrier, 0
	.set _ZN9rocsparseL19bsrsv_lower_generalILj128ELj32ELb0EdEEviNS_24const_host_device_scalarIT2_EEPKiS5_PKS2_iS7_PS2_PiS9_S9_21rocsparse_index_base_20rocsparse_diag_type_20rocsparse_direction_b.private_seg_size, 0
	.set _ZN9rocsparseL19bsrsv_lower_generalILj128ELj32ELb0EdEEviNS_24const_host_device_scalarIT2_EEPKiS5_PKS2_iS7_PS2_PiS9_S9_21rocsparse_index_base_20rocsparse_diag_type_20rocsparse_direction_b.uses_vcc, 1
	.set _ZN9rocsparseL19bsrsv_lower_generalILj128ELj32ELb0EdEEviNS_24const_host_device_scalarIT2_EEPKiS5_PKS2_iS7_PS2_PiS9_S9_21rocsparse_index_base_20rocsparse_diag_type_20rocsparse_direction_b.uses_flat_scratch, 0
	.set _ZN9rocsparseL19bsrsv_lower_generalILj128ELj32ELb0EdEEviNS_24const_host_device_scalarIT2_EEPKiS5_PKS2_iS7_PS2_PiS9_S9_21rocsparse_index_base_20rocsparse_diag_type_20rocsparse_direction_b.has_dyn_sized_stack, 0
	.set _ZN9rocsparseL19bsrsv_lower_generalILj128ELj32ELb0EdEEviNS_24const_host_device_scalarIT2_EEPKiS5_PKS2_iS7_PS2_PiS9_S9_21rocsparse_index_base_20rocsparse_diag_type_20rocsparse_direction_b.has_recursion, 0
	.set _ZN9rocsparseL19bsrsv_lower_generalILj128ELj32ELb0EdEEviNS_24const_host_device_scalarIT2_EEPKiS5_PKS2_iS7_PS2_PiS9_S9_21rocsparse_index_base_20rocsparse_diag_type_20rocsparse_direction_b.has_indirect_call, 0
	.section	.AMDGPU.csdata,"",@progbits
; Kernel info:
; codeLenInByte = 1616
; TotalNumSgprs: 39
; NumVgprs: 22
; ScratchSize: 0
; MemoryBound: 0
; FloatMode: 240
; IeeeMode: 1
; LDSByteSize: 0 bytes/workgroup (compile time only)
; SGPRBlocks: 4
; VGPRBlocks: 5
; NumSGPRsForWavesPerEU: 39
; NumVGPRsForWavesPerEU: 22
; Occupancy: 10
; WaveLimiterHint : 1
; COMPUTE_PGM_RSRC2:SCRATCH_EN: 0
; COMPUTE_PGM_RSRC2:USER_SGPR: 6
; COMPUTE_PGM_RSRC2:TRAP_HANDLER: 0
; COMPUTE_PGM_RSRC2:TGID_X_EN: 1
; COMPUTE_PGM_RSRC2:TGID_Y_EN: 0
; COMPUTE_PGM_RSRC2:TGID_Z_EN: 0
; COMPUTE_PGM_RSRC2:TIDIG_COMP_CNT: 0
	.section	.text._ZN9rocsparseL19bsrsv_upper_generalILj128ELj32ELb1EdEEviNS_24const_host_device_scalarIT2_EEPKiS5_PKS2_iS7_PS2_PiS9_S9_21rocsparse_index_base_20rocsparse_diag_type_20rocsparse_direction_b,"axG",@progbits,_ZN9rocsparseL19bsrsv_upper_generalILj128ELj32ELb1EdEEviNS_24const_host_device_scalarIT2_EEPKiS5_PKS2_iS7_PS2_PiS9_S9_21rocsparse_index_base_20rocsparse_diag_type_20rocsparse_direction_b,comdat
	.globl	_ZN9rocsparseL19bsrsv_upper_generalILj128ELj32ELb1EdEEviNS_24const_host_device_scalarIT2_EEPKiS5_PKS2_iS7_PS2_PiS9_S9_21rocsparse_index_base_20rocsparse_diag_type_20rocsparse_direction_b ; -- Begin function _ZN9rocsparseL19bsrsv_upper_generalILj128ELj32ELb1EdEEviNS_24const_host_device_scalarIT2_EEPKiS5_PKS2_iS7_PS2_PiS9_S9_21rocsparse_index_base_20rocsparse_diag_type_20rocsparse_direction_b
	.p2align	8
	.type	_ZN9rocsparseL19bsrsv_upper_generalILj128ELj32ELb1EdEEviNS_24const_host_device_scalarIT2_EEPKiS5_PKS2_iS7_PS2_PiS9_S9_21rocsparse_index_base_20rocsparse_diag_type_20rocsparse_direction_b,@function
_ZN9rocsparseL19bsrsv_upper_generalILj128ELj32ELb1EdEEviNS_24const_host_device_scalarIT2_EEPKiS5_PKS2_iS7_PS2_PiS9_S9_21rocsparse_index_base_20rocsparse_diag_type_20rocsparse_direction_b: ; @_ZN9rocsparseL19bsrsv_upper_generalILj128ELj32ELb1EdEEviNS_24const_host_device_scalarIT2_EEPKiS5_PKS2_iS7_PS2_PiS9_S9_21rocsparse_index_base_20rocsparse_diag_type_20rocsparse_direction_b
; %bb.0:
	s_load_dwordx4 s[16:19], s[4:5], 0x58
	s_load_dwordx2 s[0:1], s[4:5], 0x8
	s_waitcnt lgkmcnt(0)
	s_bitcmp1_b32 s19, 0
	s_cselect_b64 s[2:3], -1, 0
	v_mov_b32_e32 v5, s1
	s_and_b64 vcc, exec, s[2:3]
	v_mov_b32_e32 v4, s0
	s_cbranch_vccnz .LBB44_2
; %bb.1:
	v_mov_b32_e32 v2, s1
	v_mov_b32_e32 v1, s0
	flat_load_dwordx2 v[4:5], v[1:2]
.LBB44_2:
	s_load_dword s19, s[4:5], 0x0
	s_lshl_b32 s0, s6, 2
	v_lshrrev_b32_e32 v1, 5, v0
	s_and_b32 s0, s0, 0x7fffffc
	v_or_b32_e32 v1, s0, v1
	s_waitcnt lgkmcnt(0)
	v_cmp_gt_i32_e32 vcc, s19, v1
	s_and_saveexec_b64 s[0:1], vcc
	s_cbranch_execz .LBB44_47
; %bb.3:
	s_load_dwordx8 s[8:15], s[4:5], 0x38
	v_lshlrev_b32_e32 v1, 2, v1
	s_load_dword s33, s[4:5], 0x28
	v_and_b32_e32 v0, 31, v0
	s_waitcnt lgkmcnt(0)
	global_load_dword v1, v1, s[12:13]
	s_load_dwordx4 s[0:3], s[4:5], 0x10
	s_load_dwordx2 s[6:7], s[4:5], 0x20
	s_waitcnt lgkmcnt(0)
	v_mov_b32_e32 v7, s1
	s_waitcnt vmcnt(0)
	v_ashrrev_i32_e32 v2, 31, v1
	v_lshlrev_b64 v[2:3], 2, v[1:2]
	v_add_co_u32_e32 v6, vcc, s0, v2
	v_addc_co_u32_e32 v7, vcc, v7, v3, vcc
	global_load_dwordx2 v[6:7], v[6:7], off
	v_cmp_gt_i32_e64 s[0:1], s33, v0
	s_and_saveexec_b64 s[12:13], s[0:1]
	s_cbranch_execz .LBB44_6
; %bb.4:
	v_mad_u64_u32 v[8:9], s[20:21], v1, s33, v[0:1]
	s_load_dwordx2 s[4:5], s[4:5], 0x30
	v_mov_b32_e32 v12, s9
	v_ashrrev_i32_e32 v9, 31, v8
	v_lshlrev_b64 v[10:11], 3, v[8:9]
	s_waitcnt lgkmcnt(0)
	v_mov_b32_e32 v9, s5
	v_add_co_u32_e32 v8, vcc, s4, v10
	v_addc_co_u32_e32 v9, vcc, v9, v11, vcc
	v_add_co_u32_e32 v10, vcc, s8, v10
	v_addc_co_u32_e32 v11, vcc, v12, v11, vcc
	s_mov_b64 s[4:5], 0
	v_mov_b32_e32 v12, v0
.LBB44_5:                               ; =>This Inner Loop Header: Depth=1
	global_load_dwordx2 v[13:14], v[8:9], off
	v_add_co_u32_e32 v8, vcc, 0x100, v8
	v_add_u32_e32 v12, 32, v12
	v_addc_co_u32_e32 v9, vcc, 0, v9, vcc
	v_cmp_le_i32_e32 vcc, s33, v12
	s_or_b64 s[4:5], vcc, s[4:5]
	s_waitcnt vmcnt(0)
	v_mul_f64 v[13:14], v[4:5], v[13:14]
	global_store_dwordx2 v[10:11], v[13:14], off
	v_add_co_u32_e32 v10, vcc, 0x100, v10
	v_addc_co_u32_e32 v11, vcc, 0, v11, vcc
	s_andn2_b64 exec, exec, s[4:5]
	s_cbranch_execnz .LBB44_5
.LBB44_6:
	s_or_b64 exec, exec, s[12:13]
	v_mul_lo_u32 v11, v1, s33
	s_waitcnt vmcnt(0)
	v_subrev_u32_e32 v12, s16, v6
	v_xad_u32 v4, s16, -1, v7
	v_cmp_ge_i32_e32 vcc, v4, v12
	v_mov_b32_e32 v5, s19
	s_and_saveexec_b64 s[4:5], vcc
	s_cbranch_execz .LBB44_26
; %bb.7:
	v_mad_u64_u32 v[5:6], s[12:13], s33, v4, v[0:1]
	s_cmp_lg_u32 s18, 0
	s_cselect_b64 s[12:13], -1, 0
	v_mul_lo_u32 v13, s33, v5
	s_mul_i32 s19, s33, s33
	s_lshl_b32 s34, s33, 5
	s_mov_b64 s[20:21], 0
	v_mov_b32_e32 v14, s3
                                        ; implicit-def: $sgpr22_sgpr23
	s_branch .LBB44_10
.LBB44_8:                               ;   in Loop: Header=BB44_10 Depth=1
	s_or_b64 exec, exec, s[26:27]
	v_cmp_le_i32_e32 vcc, v4, v12
	v_add_u32_e32 v6, -1, v4
	s_andn2_b64 s[22:23], s[22:23], exec
	s_and_b64 s[26:27], vcc, exec
	v_subrev_u32_e32 v13, s19, v13
	s_or_b64 s[22:23], s[22:23], s[26:27]
	v_mov_b32_e32 v4, v6
.LBB44_9:                               ;   in Loop: Header=BB44_10 Depth=1
	s_or_b64 exec, exec, s[24:25]
	s_and_b64 s[24:25], exec, s[22:23]
	s_or_b64 s[20:21], s[24:25], s[20:21]
	s_andn2_b64 exec, exec, s[20:21]
	s_cbranch_execz .LBB44_25
.LBB44_10:                              ; =>This Loop Header: Depth=1
                                        ;     Child Loop BB44_14 Depth 2
                                        ;       Child Loop BB44_15 Depth 3
                                        ;     Child Loop BB44_19 Depth 2
                                        ;       Child Loop BB44_21 Depth 3
	v_ashrrev_i32_e32 v5, 31, v4
	v_lshlrev_b64 v[5:6], 2, v[4:5]
	s_or_b64 s[22:23], s[22:23], exec
	v_add_co_u32_e32 v5, vcc, s2, v5
	v_addc_co_u32_e32 v6, vcc, v14, v6, vcc
	global_load_dword v5, v[5:6], off
	s_waitcnt vmcnt(0)
	v_subrev_u32_e32 v5, s16, v5
	v_cmp_gt_i32_e32 vcc, v5, v1
	s_and_saveexec_b64 s[24:25], vcc
	s_cbranch_execz .LBB44_9
; %bb.11:                               ;   in Loop: Header=BB44_10 Depth=1
	v_ashrrev_i32_e32 v6, 31, v5
	v_lshlrev_b64 v[6:7], 2, v[5:6]
	v_mov_b32_e32 v8, s11
	v_add_co_u32_e32 v6, vcc, s10, v6
	v_addc_co_u32_e32 v7, vcc, v8, v7, vcc
	global_load_dword v8, v[6:7], off glc
	s_waitcnt vmcnt(0)
	v_cmp_eq_u32_e32 vcc, 0, v8
	s_and_saveexec_b64 s[26:27], vcc
	s_cbranch_execz .LBB44_16
; %bb.12:                               ;   in Loop: Header=BB44_10 Depth=1
	s_mov_b32 s3, 0
	s_mov_b64 s[28:29], 0
	s_branch .LBB44_14
.LBB44_13:                              ;   in Loop: Header=BB44_14 Depth=2
	global_load_dword v8, v[6:7], off glc
	s_cmpk_lt_u32 s3, 0xf43
	s_cselect_b64 s[30:31], -1, 0
	s_cmp_lg_u64 s[30:31], 0
	s_addc_u32 s3, s3, 0
	s_waitcnt vmcnt(0)
	v_cmp_ne_u32_e32 vcc, 0, v8
	s_or_b64 s[28:29], vcc, s[28:29]
	s_andn2_b64 exec, exec, s[28:29]
	s_cbranch_execz .LBB44_16
.LBB44_14:                              ;   Parent Loop BB44_10 Depth=1
                                        ; =>  This Loop Header: Depth=2
                                        ;       Child Loop BB44_15 Depth 3
	s_cmp_eq_u32 s3, 0
	s_mov_b32 s30, s3
	s_cbranch_scc1 .LBB44_13
.LBB44_15:                              ;   Parent Loop BB44_10 Depth=1
                                        ;     Parent Loop BB44_14 Depth=2
                                        ; =>    This Inner Loop Header: Depth=3
	s_add_i32 s30, s30, -1
	s_cmp_eq_u32 s30, 0
	s_sleep 1
	s_cbranch_scc0 .LBB44_15
	s_branch .LBB44_13
.LBB44_16:                              ;   in Loop: Header=BB44_10 Depth=1
	s_or_b64 exec, exec, s[26:27]
	buffer_wbinvl1_vol
	s_and_saveexec_b64 s[26:27], s[0:1]
	s_cbranch_execz .LBB44_8
; %bb.17:                               ;   in Loop: Header=BB44_10 Depth=1
	v_mul_lo_u32 v15, v4, s33
	v_mul_lo_u32 v16, v5, s33
	s_mov_b64 s[28:29], 0
	v_mov_b32_e32 v17, v13
	v_mov_b32_e32 v6, v0
	s_branch .LBB44_19
.LBB44_18:                              ;   in Loop: Header=BB44_19 Depth=2
	v_add_u32_e32 v9, v6, v11
	v_ashrrev_i32_e32 v10, 31, v9
	v_lshlrev_b64 v[9:10], 3, v[9:10]
	v_mov_b32_e32 v18, s9
	v_add_co_u32_e32 v9, vcc, s8, v9
	v_addc_co_u32_e32 v10, vcc, v18, v10, vcc
	global_load_dwordx2 v[18:19], v[9:10], off
	v_add_u32_e32 v6, 32, v6
	v_cmp_le_i32_e32 vcc, s33, v6
	s_or_b64 s[28:29], vcc, s[28:29]
	v_add_u32_e32 v17, s34, v17
	s_waitcnt vmcnt(0)
	v_add_f64 v[7:8], v[18:19], -v[7:8]
	global_store_dwordx2 v[9:10], v[7:8], off
	s_andn2_b64 exec, exec, s[28:29]
	s_cbranch_execz .LBB44_8
.LBB44_19:                              ;   Parent Loop BB44_10 Depth=1
                                        ; =>  This Loop Header: Depth=2
                                        ;       Child Loop BB44_21 Depth 3
	v_mov_b32_e32 v7, 0
	v_mov_b32_e32 v8, 0
	s_mov_b32 s3, 0
	s_branch .LBB44_21
.LBB44_20:                              ;   in Loop: Header=BB44_21 Depth=3
	v_ashrrev_i32_e32 v10, 31, v9
	v_lshlrev_b64 v[9:10], 3, v[9:10]
	v_mov_b32_e32 v18, s7
	v_add_co_u32_e32 v9, vcc, s6, v9
	v_addc_co_u32_e32 v10, vcc, v18, v10, vcc
	v_add_u32_e32 v18, s3, v16
	v_ashrrev_i32_e32 v19, 31, v18
	v_lshlrev_b64 v[18:19], 3, v[18:19]
	v_mov_b32_e32 v20, s9
	v_add_co_u32_e32 v18, vcc, s8, v18
	v_addc_co_u32_e32 v19, vcc, v20, v19, vcc
	global_load_dwordx2 v[9:10], v[9:10], off
	s_add_i32 s3, s3, 1
	global_load_dwordx2 v[18:19], v[18:19], off
	s_cmp_eq_u32 s33, s3
	s_waitcnt vmcnt(0)
	v_fma_f64 v[7:8], v[9:10], v[18:19], v[7:8]
	s_cbranch_scc1 .LBB44_18
.LBB44_21:                              ;   Parent Loop BB44_10 Depth=1
                                        ;     Parent Loop BB44_19 Depth=2
                                        ; =>    This Inner Loop Header: Depth=3
	s_and_b64 vcc, exec, s[12:13]
	s_cbranch_vccz .LBB44_23
; %bb.22:                               ;   in Loop: Header=BB44_21 Depth=3
	v_add_u32_e32 v9, s3, v15
	v_mad_u64_u32 v[9:10], s[30:31], v9, s33, v[6:7]
	s_cbranch_execnz .LBB44_20
	s_branch .LBB44_24
.LBB44_23:                              ;   in Loop: Header=BB44_21 Depth=3
                                        ; implicit-def: $vgpr9
.LBB44_24:                              ;   in Loop: Header=BB44_21 Depth=3
	v_add_u32_e32 v9, s3, v17
	s_branch .LBB44_20
.LBB44_25:
	s_or_b64 exec, exec, s[20:21]
.LBB44_26:
	s_or_b64 exec, exec, s[4:5]
	s_cmp_gt_i32 s33, 0
	v_cmp_eq_u32_e32 vcc, v5, v1
	s_cselect_b64 s[0:1], -1, 0
	s_and_b64 s[4:5], s[0:1], vcc
	s_mov_b64 s[0:1], 0
	s_and_saveexec_b64 s[2:3], s[4:5]
	s_cbranch_execz .LBB44_41
; %bb.27:
	v_mul_lo_u32 v10, v4, s33
	s_cmp_eq_u32 s17, 0
	s_cselect_b64 s[0:1], -1, 0
	s_cmp_lg_u32 s18, 0
	v_add_u32_e32 v4, v10, v0
	v_mul_lo_u32 v4, s33, v4
	s_mov_b64 s[20:21], 0
	s_cselect_b64 s[4:5], -1, 0
	s_lshl_b32 s17, s33, 5
	v_add3_u32 v12, v4, s33, -1
	v_cndmask_b32_e64 v4, 0, 1, s[0:1]
	v_cmp_ne_u32_e64 s[0:1], 1, v4
	v_mov_b32_e32 v13, s9
                                        ; implicit-def: $sgpr12_sgpr13
	s_mov_b32 s22, s33
.LBB44_28:                              ; =>This Loop Header: Depth=1
                                        ;     Child Loop BB44_35 Depth 2
	v_mov_b32_e32 v6, 0
	v_mov_b32_e32 v7, 0x3ff00000
	s_and_b64 vcc, exec, s[0:1]
	s_add_i32 s23, s22, -1
	s_cbranch_vccnz .LBB44_30
; %bb.29:                               ;   in Loop: Header=BB44_28 Depth=1
	s_waitcnt vmcnt(0)
	v_add_u32_e32 v4, s23, v10
	v_mul_lo_u32 v4, v4, s33
	v_mov_b32_e32 v6, s7
	v_add_u32_e32 v4, s23, v4
	v_ashrrev_i32_e32 v5, 31, v4
	v_lshlrev_b64 v[4:5], 3, v[4:5]
	v_add_co_u32_e32 v4, vcc, s6, v4
	v_addc_co_u32_e32 v5, vcc, v6, v5, vcc
	global_load_dwordx2 v[6:7], v[4:5], off
.LBB44_30:                              ;   in Loop: Header=BB44_28 Depth=1
	s_ashr_i32 s18, s22, 31
	s_waitcnt vmcnt(0)
	v_mov_b32_e32 v5, s18
	v_ashrrev_i32_e32 v8, 31, v11
	v_add_co_u32_e32 v4, vcc, s22, v11
	v_addc_co_u32_e32 v5, vcc, v5, v8, vcc
	v_lshlrev_b64 v[4:5], 3, v[4:5]
	s_or_b64 s[12:13], s[12:13], exec
	v_add_co_u32_e32 v8, vcc, s8, v4
	v_addc_co_u32_e32 v9, vcc, v13, v5, vcc
	global_load_dwordx2 v[4:5], v[8:9], off offset:-8
	s_waitcnt vmcnt(1)
	v_cmp_neq_f64_e32 vcc, 0, v[6:7]
	s_and_saveexec_b64 s[18:19], vcc
	s_cbranch_execz .LBB44_32
; %bb.31:                               ;   in Loop: Header=BB44_28 Depth=1
	s_waitcnt vmcnt(0)
	v_div_scale_f64 v[14:15], s[24:25], v[6:7], v[6:7], v[4:5]
	s_andn2_b64 s[12:13], s[12:13], exec
	s_and_b64 s[20:21], s[20:21], exec
	s_or_b64 s[12:13], s[12:13], s[20:21]
	v_rcp_f64_e32 v[16:17], v[14:15]
	v_fma_f64 v[18:19], -v[14:15], v[16:17], 1.0
	v_fma_f64 v[16:17], v[16:17], v[18:19], v[16:17]
	v_div_scale_f64 v[18:19], vcc, v[4:5], v[6:7], v[4:5]
	v_fma_f64 v[20:21], -v[14:15], v[16:17], 1.0
	v_fma_f64 v[16:17], v[16:17], v[20:21], v[16:17]
	v_mul_f64 v[20:21], v[18:19], v[16:17]
	v_fma_f64 v[14:15], -v[14:15], v[20:21], v[18:19]
	v_div_fmas_f64 v[14:15], v[14:15], v[16:17], v[20:21]
	v_div_fixup_f64 v[4:5], v[14:15], v[6:7], v[4:5]
	global_store_dwordx2 v[8:9], v[4:5], off offset:-8
.LBB44_32:                              ;   in Loop: Header=BB44_28 Depth=1
	s_or_b64 exec, exec, s[18:19]
	v_cmp_gt_i32_e32 vcc, s23, v0
	s_and_saveexec_b64 s[18:19], vcc
	s_cbranch_execz .LBB44_37
; %bb.33:                               ;   in Loop: Header=BB44_28 Depth=1
	v_add_u32_e32 v6, s23, v10
	v_mul_lo_u32 v8, v6, s33
	s_mov_b64 s[20:21], 0
	v_mov_b32_e32 v9, v12
	v_mov_b32_e32 v14, v0
	s_branch .LBB44_35
.LBB44_34:                              ;   in Loop: Header=BB44_35 Depth=2
	v_ashrrev_i32_e32 v7, 31, v6
	v_lshlrev_b64 v[6:7], 3, v[6:7]
	v_mov_b32_e32 v15, s7
	v_add_co_u32_e32 v6, vcc, s6, v6
	v_addc_co_u32_e32 v7, vcc, v15, v7, vcc
	v_add_u32_e32 v15, v11, v14
	v_ashrrev_i32_e32 v16, 31, v15
	v_lshlrev_b64 v[15:16], 3, v[15:16]
	v_mov_b32_e32 v17, s9
	v_add_co_u32_e32 v15, vcc, s8, v15
	v_addc_co_u32_e32 v16, vcc, v17, v16, vcc
	global_load_dwordx2 v[6:7], v[6:7], off
	v_add_u32_e32 v14, 32, v14
	global_load_dwordx2 v[17:18], v[15:16], off
	v_cmp_le_i32_e32 vcc, s23, v14
	s_or_b64 s[20:21], vcc, s[20:21]
	v_add_u32_e32 v9, s17, v9
	s_waitcnt vmcnt(0)
	v_fma_f64 v[6:7], -v[4:5], v[6:7], v[17:18]
	global_store_dwordx2 v[15:16], v[6:7], off
	s_andn2_b64 exec, exec, s[20:21]
	s_cbranch_execz .LBB44_37
.LBB44_35:                              ;   Parent Loop BB44_28 Depth=1
                                        ; =>  This Inner Loop Header: Depth=2
	s_andn2_b64 vcc, exec, s[4:5]
	v_mov_b32_e32 v6, v9
	s_cbranch_vccnz .LBB44_34
; %bb.36:                               ;   in Loop: Header=BB44_35 Depth=2
	v_add_u32_e32 v6, v14, v8
	s_branch .LBB44_34
.LBB44_37:                              ;   in Loop: Header=BB44_28 Depth=1
	s_or_b64 exec, exec, s[18:19]
; %bb.38:                               ;   in Loop: Header=BB44_28 Depth=1
	s_cmp_lt_i32 s22, 2
	v_add_u32_e32 v12, -1, v12
	s_cbranch_scc1 .LBB44_40
; %bb.39:                               ;   in Loop: Header=BB44_28 Depth=1
	s_mov_b64 s[20:21], s[12:13]
	s_mov_b32 s22, s23
	s_branch .LBB44_28
.LBB44_40:
	s_and_b64 s[0:1], s[12:13], exec
.LBB44_41:
	s_or_b64 exec, exec, s[2:3]
	v_cmp_eq_u32_e32 vcc, 0, v0
	s_and_b64 exec, exec, vcc
	s_cbranch_execz .LBB44_47
; %bb.42:
	v_mov_b32_e32 v0, s11
	v_add_co_u32_e32 v2, vcc, s10, v2
	v_addc_co_u32_e32 v3, vcc, v0, v3, vcc
	v_mov_b32_e32 v0, 1
	s_waitcnt vmcnt(0)
	global_store_dword v[2:3], v0, off
	s_and_b64 exec, exec, s[0:1]
	s_cbranch_execz .LBB44_47
; %bb.43:
	s_mov_b64 s[0:1], exec
	v_add_u32_e32 v0, s16, v1
	s_brev_b32 s2, -2
.LBB44_44:                              ; =>This Inner Loop Header: Depth=1
	s_ff1_i32_b64 s3, s[0:1]
	v_readlane_b32 s6, v0, s3
	s_lshl_b64 s[4:5], 1, s3
	s_min_i32 s2, s2, s6
	s_andn2_b64 s[0:1], s[0:1], s[4:5]
	s_cmp_lg_u64 s[0:1], 0
	s_cbranch_scc1 .LBB44_44
; %bb.45:
	v_mbcnt_lo_u32_b32 v0, exec_lo, 0
	v_mbcnt_hi_u32_b32 v0, exec_hi, v0
	v_cmp_eq_u32_e32 vcc, 0, v0
	s_and_saveexec_b64 s[0:1], vcc
	s_xor_b64 s[0:1], exec, s[0:1]
	s_cbranch_execz .LBB44_47
; %bb.46:
	v_mov_b32_e32 v0, 0
	v_mov_b32_e32 v1, s2
	global_atomic_smin v0, v1, s[14:15]
.LBB44_47:
	s_endpgm
	.section	.rodata,"a",@progbits
	.p2align	6, 0x0
	.amdhsa_kernel _ZN9rocsparseL19bsrsv_upper_generalILj128ELj32ELb1EdEEviNS_24const_host_device_scalarIT2_EEPKiS5_PKS2_iS7_PS2_PiS9_S9_21rocsparse_index_base_20rocsparse_diag_type_20rocsparse_direction_b
		.amdhsa_group_segment_fixed_size 0
		.amdhsa_private_segment_fixed_size 0
		.amdhsa_kernarg_size 104
		.amdhsa_user_sgpr_count 6
		.amdhsa_user_sgpr_private_segment_buffer 1
		.amdhsa_user_sgpr_dispatch_ptr 0
		.amdhsa_user_sgpr_queue_ptr 0
		.amdhsa_user_sgpr_kernarg_segment_ptr 1
		.amdhsa_user_sgpr_dispatch_id 0
		.amdhsa_user_sgpr_flat_scratch_init 0
		.amdhsa_user_sgpr_private_segment_size 0
		.amdhsa_uses_dynamic_stack 0
		.amdhsa_system_sgpr_private_segment_wavefront_offset 0
		.amdhsa_system_sgpr_workgroup_id_x 1
		.amdhsa_system_sgpr_workgroup_id_y 0
		.amdhsa_system_sgpr_workgroup_id_z 0
		.amdhsa_system_sgpr_workgroup_info 0
		.amdhsa_system_vgpr_workitem_id 0
		.amdhsa_next_free_vgpr 22
		.amdhsa_next_free_sgpr 35
		.amdhsa_reserve_vcc 1
		.amdhsa_reserve_flat_scratch 0
		.amdhsa_float_round_mode_32 0
		.amdhsa_float_round_mode_16_64 0
		.amdhsa_float_denorm_mode_32 3
		.amdhsa_float_denorm_mode_16_64 3
		.amdhsa_dx10_clamp 1
		.amdhsa_ieee_mode 1
		.amdhsa_fp16_overflow 0
		.amdhsa_exception_fp_ieee_invalid_op 0
		.amdhsa_exception_fp_denorm_src 0
		.amdhsa_exception_fp_ieee_div_zero 0
		.amdhsa_exception_fp_ieee_overflow 0
		.amdhsa_exception_fp_ieee_underflow 0
		.amdhsa_exception_fp_ieee_inexact 0
		.amdhsa_exception_int_div_zero 0
	.end_amdhsa_kernel
	.section	.text._ZN9rocsparseL19bsrsv_upper_generalILj128ELj32ELb1EdEEviNS_24const_host_device_scalarIT2_EEPKiS5_PKS2_iS7_PS2_PiS9_S9_21rocsparse_index_base_20rocsparse_diag_type_20rocsparse_direction_b,"axG",@progbits,_ZN9rocsparseL19bsrsv_upper_generalILj128ELj32ELb1EdEEviNS_24const_host_device_scalarIT2_EEPKiS5_PKS2_iS7_PS2_PiS9_S9_21rocsparse_index_base_20rocsparse_diag_type_20rocsparse_direction_b,comdat
.Lfunc_end44:
	.size	_ZN9rocsparseL19bsrsv_upper_generalILj128ELj32ELb1EdEEviNS_24const_host_device_scalarIT2_EEPKiS5_PKS2_iS7_PS2_PiS9_S9_21rocsparse_index_base_20rocsparse_diag_type_20rocsparse_direction_b, .Lfunc_end44-_ZN9rocsparseL19bsrsv_upper_generalILj128ELj32ELb1EdEEviNS_24const_host_device_scalarIT2_EEPKiS5_PKS2_iS7_PS2_PiS9_S9_21rocsparse_index_base_20rocsparse_diag_type_20rocsparse_direction_b
                                        ; -- End function
	.set _ZN9rocsparseL19bsrsv_upper_generalILj128ELj32ELb1EdEEviNS_24const_host_device_scalarIT2_EEPKiS5_PKS2_iS7_PS2_PiS9_S9_21rocsparse_index_base_20rocsparse_diag_type_20rocsparse_direction_b.num_vgpr, 22
	.set _ZN9rocsparseL19bsrsv_upper_generalILj128ELj32ELb1EdEEviNS_24const_host_device_scalarIT2_EEPKiS5_PKS2_iS7_PS2_PiS9_S9_21rocsparse_index_base_20rocsparse_diag_type_20rocsparse_direction_b.num_agpr, 0
	.set _ZN9rocsparseL19bsrsv_upper_generalILj128ELj32ELb1EdEEviNS_24const_host_device_scalarIT2_EEPKiS5_PKS2_iS7_PS2_PiS9_S9_21rocsparse_index_base_20rocsparse_diag_type_20rocsparse_direction_b.numbered_sgpr, 35
	.set _ZN9rocsparseL19bsrsv_upper_generalILj128ELj32ELb1EdEEviNS_24const_host_device_scalarIT2_EEPKiS5_PKS2_iS7_PS2_PiS9_S9_21rocsparse_index_base_20rocsparse_diag_type_20rocsparse_direction_b.num_named_barrier, 0
	.set _ZN9rocsparseL19bsrsv_upper_generalILj128ELj32ELb1EdEEviNS_24const_host_device_scalarIT2_EEPKiS5_PKS2_iS7_PS2_PiS9_S9_21rocsparse_index_base_20rocsparse_diag_type_20rocsparse_direction_b.private_seg_size, 0
	.set _ZN9rocsparseL19bsrsv_upper_generalILj128ELj32ELb1EdEEviNS_24const_host_device_scalarIT2_EEPKiS5_PKS2_iS7_PS2_PiS9_S9_21rocsparse_index_base_20rocsparse_diag_type_20rocsparse_direction_b.uses_vcc, 1
	.set _ZN9rocsparseL19bsrsv_upper_generalILj128ELj32ELb1EdEEviNS_24const_host_device_scalarIT2_EEPKiS5_PKS2_iS7_PS2_PiS9_S9_21rocsparse_index_base_20rocsparse_diag_type_20rocsparse_direction_b.uses_flat_scratch, 0
	.set _ZN9rocsparseL19bsrsv_upper_generalILj128ELj32ELb1EdEEviNS_24const_host_device_scalarIT2_EEPKiS5_PKS2_iS7_PS2_PiS9_S9_21rocsparse_index_base_20rocsparse_diag_type_20rocsparse_direction_b.has_dyn_sized_stack, 0
	.set _ZN9rocsparseL19bsrsv_upper_generalILj128ELj32ELb1EdEEviNS_24const_host_device_scalarIT2_EEPKiS5_PKS2_iS7_PS2_PiS9_S9_21rocsparse_index_base_20rocsparse_diag_type_20rocsparse_direction_b.has_recursion, 0
	.set _ZN9rocsparseL19bsrsv_upper_generalILj128ELj32ELb1EdEEviNS_24const_host_device_scalarIT2_EEPKiS5_PKS2_iS7_PS2_PiS9_S9_21rocsparse_index_base_20rocsparse_diag_type_20rocsparse_direction_b.has_indirect_call, 0
	.section	.AMDGPU.csdata,"",@progbits
; Kernel info:
; codeLenInByte = 1672
; TotalNumSgprs: 39
; NumVgprs: 22
; ScratchSize: 0
; MemoryBound: 0
; FloatMode: 240
; IeeeMode: 1
; LDSByteSize: 0 bytes/workgroup (compile time only)
; SGPRBlocks: 4
; VGPRBlocks: 5
; NumSGPRsForWavesPerEU: 39
; NumVGPRsForWavesPerEU: 22
; Occupancy: 10
; WaveLimiterHint : 1
; COMPUTE_PGM_RSRC2:SCRATCH_EN: 0
; COMPUTE_PGM_RSRC2:USER_SGPR: 6
; COMPUTE_PGM_RSRC2:TRAP_HANDLER: 0
; COMPUTE_PGM_RSRC2:TGID_X_EN: 1
; COMPUTE_PGM_RSRC2:TGID_Y_EN: 0
; COMPUTE_PGM_RSRC2:TGID_Z_EN: 0
; COMPUTE_PGM_RSRC2:TIDIG_COMP_CNT: 0
	.section	.text._ZN9rocsparseL19bsrsv_upper_generalILj128ELj32ELb0EdEEviNS_24const_host_device_scalarIT2_EEPKiS5_PKS2_iS7_PS2_PiS9_S9_21rocsparse_index_base_20rocsparse_diag_type_20rocsparse_direction_b,"axG",@progbits,_ZN9rocsparseL19bsrsv_upper_generalILj128ELj32ELb0EdEEviNS_24const_host_device_scalarIT2_EEPKiS5_PKS2_iS7_PS2_PiS9_S9_21rocsparse_index_base_20rocsparse_diag_type_20rocsparse_direction_b,comdat
	.globl	_ZN9rocsparseL19bsrsv_upper_generalILj128ELj32ELb0EdEEviNS_24const_host_device_scalarIT2_EEPKiS5_PKS2_iS7_PS2_PiS9_S9_21rocsparse_index_base_20rocsparse_diag_type_20rocsparse_direction_b ; -- Begin function _ZN9rocsparseL19bsrsv_upper_generalILj128ELj32ELb0EdEEviNS_24const_host_device_scalarIT2_EEPKiS5_PKS2_iS7_PS2_PiS9_S9_21rocsparse_index_base_20rocsparse_diag_type_20rocsparse_direction_b
	.p2align	8
	.type	_ZN9rocsparseL19bsrsv_upper_generalILj128ELj32ELb0EdEEviNS_24const_host_device_scalarIT2_EEPKiS5_PKS2_iS7_PS2_PiS9_S9_21rocsparse_index_base_20rocsparse_diag_type_20rocsparse_direction_b,@function
_ZN9rocsparseL19bsrsv_upper_generalILj128ELj32ELb0EdEEviNS_24const_host_device_scalarIT2_EEPKiS5_PKS2_iS7_PS2_PiS9_S9_21rocsparse_index_base_20rocsparse_diag_type_20rocsparse_direction_b: ; @_ZN9rocsparseL19bsrsv_upper_generalILj128ELj32ELb0EdEEviNS_24const_host_device_scalarIT2_EEPKiS5_PKS2_iS7_PS2_PiS9_S9_21rocsparse_index_base_20rocsparse_diag_type_20rocsparse_direction_b
; %bb.0:
	s_load_dwordx4 s[16:19], s[4:5], 0x58
	s_load_dwordx2 s[0:1], s[4:5], 0x8
	s_waitcnt lgkmcnt(0)
	s_bitcmp1_b32 s19, 0
	s_cselect_b64 s[2:3], -1, 0
	v_mov_b32_e32 v5, s1
	s_and_b64 vcc, exec, s[2:3]
	v_mov_b32_e32 v4, s0
	s_cbranch_vccnz .LBB45_2
; %bb.1:
	v_mov_b32_e32 v2, s1
	v_mov_b32_e32 v1, s0
	flat_load_dwordx2 v[4:5], v[1:2]
.LBB45_2:
	s_load_dword s19, s[4:5], 0x0
	s_lshl_b32 s0, s6, 2
	v_lshrrev_b32_e32 v1, 5, v0
	s_and_b32 s0, s0, 0x7fffffc
	v_or_b32_e32 v1, s0, v1
	s_waitcnt lgkmcnt(0)
	v_cmp_gt_i32_e32 vcc, s19, v1
	s_and_saveexec_b64 s[0:1], vcc
	s_cbranch_execz .LBB45_45
; %bb.3:
	s_load_dwordx8 s[8:15], s[4:5], 0x38
	v_lshlrev_b32_e32 v1, 2, v1
	s_load_dword s33, s[4:5], 0x28
	v_and_b32_e32 v0, 31, v0
	s_waitcnt lgkmcnt(0)
	global_load_dword v1, v1, s[12:13]
	s_load_dwordx4 s[0:3], s[4:5], 0x10
	s_load_dwordx2 s[6:7], s[4:5], 0x20
	s_waitcnt lgkmcnt(0)
	v_mov_b32_e32 v7, s1
	s_waitcnt vmcnt(0)
	v_ashrrev_i32_e32 v2, 31, v1
	v_lshlrev_b64 v[2:3], 2, v[1:2]
	v_add_co_u32_e32 v6, vcc, s0, v2
	v_addc_co_u32_e32 v7, vcc, v7, v3, vcc
	global_load_dwordx2 v[6:7], v[6:7], off
	v_cmp_gt_i32_e64 s[0:1], s33, v0
	s_and_saveexec_b64 s[12:13], s[0:1]
	s_cbranch_execz .LBB45_6
; %bb.4:
	v_mad_u64_u32 v[8:9], s[20:21], v1, s33, v[0:1]
	s_load_dwordx2 s[4:5], s[4:5], 0x30
	v_mov_b32_e32 v12, s9
	v_ashrrev_i32_e32 v9, 31, v8
	v_lshlrev_b64 v[10:11], 3, v[8:9]
	s_waitcnt lgkmcnt(0)
	v_mov_b32_e32 v9, s5
	v_add_co_u32_e32 v8, vcc, s4, v10
	v_addc_co_u32_e32 v9, vcc, v9, v11, vcc
	v_add_co_u32_e32 v10, vcc, s8, v10
	v_addc_co_u32_e32 v11, vcc, v12, v11, vcc
	s_mov_b64 s[4:5], 0
	v_mov_b32_e32 v12, v0
.LBB45_5:                               ; =>This Inner Loop Header: Depth=1
	global_load_dwordx2 v[13:14], v[8:9], off
	v_add_co_u32_e32 v8, vcc, 0x100, v8
	v_add_u32_e32 v12, 32, v12
	v_addc_co_u32_e32 v9, vcc, 0, v9, vcc
	v_cmp_le_i32_e32 vcc, s33, v12
	s_or_b64 s[4:5], vcc, s[4:5]
	s_waitcnt vmcnt(0)
	v_mul_f64 v[13:14], v[4:5], v[13:14]
	global_store_dwordx2 v[10:11], v[13:14], off
	v_add_co_u32_e32 v10, vcc, 0x100, v10
	v_addc_co_u32_e32 v11, vcc, 0, v11, vcc
	s_andn2_b64 exec, exec, s[4:5]
	s_cbranch_execnz .LBB45_5
.LBB45_6:
	s_or_b64 exec, exec, s[12:13]
	v_mul_lo_u32 v11, v1, s33
	s_waitcnt vmcnt(0)
	v_subrev_u32_e32 v12, s16, v6
	v_xad_u32 v4, s16, -1, v7
	v_cmp_ge_i32_e32 vcc, v4, v12
	v_mov_b32_e32 v5, s19
	s_and_saveexec_b64 s[4:5], vcc
	s_cbranch_execz .LBB45_24
; %bb.7:
	v_mad_u64_u32 v[5:6], s[12:13], s33, v4, v[0:1]
	s_cmp_lg_u32 s18, 0
	s_cselect_b64 s[12:13], -1, 0
	v_mul_lo_u32 v13, s33, v5
	s_mul_i32 s19, s33, s33
	s_lshl_b32 s34, s33, 5
	s_mov_b64 s[20:21], 0
	v_mov_b32_e32 v14, s3
                                        ; implicit-def: $sgpr22_sgpr23
	s_branch .LBB45_10
.LBB45_8:                               ;   in Loop: Header=BB45_10 Depth=1
	s_or_b64 exec, exec, s[26:27]
	v_cmp_le_i32_e32 vcc, v4, v12
	v_add_u32_e32 v6, -1, v4
	s_andn2_b64 s[22:23], s[22:23], exec
	s_and_b64 s[26:27], vcc, exec
	v_subrev_u32_e32 v13, s19, v13
	s_or_b64 s[22:23], s[22:23], s[26:27]
	v_mov_b32_e32 v4, v6
.LBB45_9:                               ;   in Loop: Header=BB45_10 Depth=1
	s_or_b64 exec, exec, s[24:25]
	s_and_b64 s[24:25], exec, s[22:23]
	s_or_b64 s[20:21], s[24:25], s[20:21]
	s_andn2_b64 exec, exec, s[20:21]
	s_cbranch_execz .LBB45_23
.LBB45_10:                              ; =>This Loop Header: Depth=1
                                        ;     Child Loop BB45_13 Depth 2
                                        ;     Child Loop BB45_17 Depth 2
                                        ;       Child Loop BB45_19 Depth 3
	v_ashrrev_i32_e32 v5, 31, v4
	v_lshlrev_b64 v[5:6], 2, v[4:5]
	s_or_b64 s[22:23], s[22:23], exec
	v_add_co_u32_e32 v5, vcc, s2, v5
	v_addc_co_u32_e32 v6, vcc, v14, v6, vcc
	global_load_dword v5, v[5:6], off
	s_waitcnt vmcnt(0)
	v_subrev_u32_e32 v5, s16, v5
	v_cmp_gt_i32_e32 vcc, v5, v1
	s_and_saveexec_b64 s[24:25], vcc
	s_cbranch_execz .LBB45_9
; %bb.11:                               ;   in Loop: Header=BB45_10 Depth=1
	v_ashrrev_i32_e32 v6, 31, v5
	v_lshlrev_b64 v[6:7], 2, v[5:6]
	v_mov_b32_e32 v8, s11
	v_add_co_u32_e32 v6, vcc, s10, v6
	v_addc_co_u32_e32 v7, vcc, v8, v7, vcc
	global_load_dword v8, v[6:7], off glc
	s_waitcnt vmcnt(0)
	v_cmp_eq_u32_e32 vcc, 0, v8
	s_and_saveexec_b64 s[26:27], vcc
	s_cbranch_execz .LBB45_14
; %bb.12:                               ;   in Loop: Header=BB45_10 Depth=1
	s_mov_b64 s[28:29], 0
.LBB45_13:                              ;   Parent Loop BB45_10 Depth=1
                                        ; =>  This Inner Loop Header: Depth=2
	global_load_dword v8, v[6:7], off glc
	s_waitcnt vmcnt(0)
	v_cmp_ne_u32_e32 vcc, 0, v8
	s_or_b64 s[28:29], vcc, s[28:29]
	s_andn2_b64 exec, exec, s[28:29]
	s_cbranch_execnz .LBB45_13
.LBB45_14:                              ;   in Loop: Header=BB45_10 Depth=1
	s_or_b64 exec, exec, s[26:27]
	buffer_wbinvl1_vol
	s_and_saveexec_b64 s[26:27], s[0:1]
	s_cbranch_execz .LBB45_8
; %bb.15:                               ;   in Loop: Header=BB45_10 Depth=1
	v_mul_lo_u32 v15, v4, s33
	v_mul_lo_u32 v16, v5, s33
	s_mov_b64 s[28:29], 0
	v_mov_b32_e32 v17, v13
	v_mov_b32_e32 v6, v0
	s_branch .LBB45_17
.LBB45_16:                              ;   in Loop: Header=BB45_17 Depth=2
	v_add_u32_e32 v9, v6, v11
	v_ashrrev_i32_e32 v10, 31, v9
	v_lshlrev_b64 v[9:10], 3, v[9:10]
	v_mov_b32_e32 v18, s9
	v_add_co_u32_e32 v9, vcc, s8, v9
	v_addc_co_u32_e32 v10, vcc, v18, v10, vcc
	global_load_dwordx2 v[18:19], v[9:10], off
	v_add_u32_e32 v6, 32, v6
	v_cmp_le_i32_e32 vcc, s33, v6
	s_or_b64 s[28:29], vcc, s[28:29]
	v_add_u32_e32 v17, s34, v17
	s_waitcnt vmcnt(0)
	v_add_f64 v[7:8], v[18:19], -v[7:8]
	global_store_dwordx2 v[9:10], v[7:8], off
	s_andn2_b64 exec, exec, s[28:29]
	s_cbranch_execz .LBB45_8
.LBB45_17:                              ;   Parent Loop BB45_10 Depth=1
                                        ; =>  This Loop Header: Depth=2
                                        ;       Child Loop BB45_19 Depth 3
	v_mov_b32_e32 v7, 0
	v_mov_b32_e32 v8, 0
	s_mov_b32 s3, 0
	s_branch .LBB45_19
.LBB45_18:                              ;   in Loop: Header=BB45_19 Depth=3
	v_ashrrev_i32_e32 v10, 31, v9
	v_lshlrev_b64 v[9:10], 3, v[9:10]
	v_mov_b32_e32 v18, s7
	v_add_co_u32_e32 v9, vcc, s6, v9
	v_addc_co_u32_e32 v10, vcc, v18, v10, vcc
	v_add_u32_e32 v18, s3, v16
	v_ashrrev_i32_e32 v19, 31, v18
	v_lshlrev_b64 v[18:19], 3, v[18:19]
	v_mov_b32_e32 v20, s9
	v_add_co_u32_e32 v18, vcc, s8, v18
	v_addc_co_u32_e32 v19, vcc, v20, v19, vcc
	global_load_dwordx2 v[9:10], v[9:10], off
	s_add_i32 s3, s3, 1
	global_load_dwordx2 v[18:19], v[18:19], off
	s_cmp_eq_u32 s33, s3
	s_waitcnt vmcnt(0)
	v_fma_f64 v[7:8], v[9:10], v[18:19], v[7:8]
	s_cbranch_scc1 .LBB45_16
.LBB45_19:                              ;   Parent Loop BB45_10 Depth=1
                                        ;     Parent Loop BB45_17 Depth=2
                                        ; =>    This Inner Loop Header: Depth=3
	s_and_b64 vcc, exec, s[12:13]
	s_cbranch_vccz .LBB45_21
; %bb.20:                               ;   in Loop: Header=BB45_19 Depth=3
	v_add_u32_e32 v9, s3, v15
	v_mad_u64_u32 v[9:10], s[30:31], v9, s33, v[6:7]
	s_cbranch_execnz .LBB45_18
	s_branch .LBB45_22
.LBB45_21:                              ;   in Loop: Header=BB45_19 Depth=3
                                        ; implicit-def: $vgpr9
.LBB45_22:                              ;   in Loop: Header=BB45_19 Depth=3
	v_add_u32_e32 v9, s3, v17
	s_branch .LBB45_18
.LBB45_23:
	s_or_b64 exec, exec, s[20:21]
.LBB45_24:
	s_or_b64 exec, exec, s[4:5]
	s_cmp_gt_i32 s33, 0
	v_cmp_eq_u32_e32 vcc, v5, v1
	s_cselect_b64 s[0:1], -1, 0
	s_and_b64 s[4:5], s[0:1], vcc
	s_mov_b64 s[0:1], 0
	s_and_saveexec_b64 s[2:3], s[4:5]
	s_cbranch_execz .LBB45_39
; %bb.25:
	v_mul_lo_u32 v10, v4, s33
	s_cmp_eq_u32 s17, 0
	s_cselect_b64 s[0:1], -1, 0
	s_cmp_lg_u32 s18, 0
	v_add_u32_e32 v4, v10, v0
	v_mul_lo_u32 v4, s33, v4
	s_mov_b64 s[20:21], 0
	s_cselect_b64 s[4:5], -1, 0
	s_lshl_b32 s17, s33, 5
	v_add3_u32 v12, v4, s33, -1
	v_cndmask_b32_e64 v4, 0, 1, s[0:1]
	v_cmp_ne_u32_e64 s[0:1], 1, v4
	v_mov_b32_e32 v13, s9
                                        ; implicit-def: $sgpr12_sgpr13
	s_mov_b32 s22, s33
.LBB45_26:                              ; =>This Loop Header: Depth=1
                                        ;     Child Loop BB45_33 Depth 2
	v_mov_b32_e32 v6, 0
	v_mov_b32_e32 v7, 0x3ff00000
	s_and_b64 vcc, exec, s[0:1]
	s_add_i32 s23, s22, -1
	s_cbranch_vccnz .LBB45_28
; %bb.27:                               ;   in Loop: Header=BB45_26 Depth=1
	s_waitcnt vmcnt(0)
	v_add_u32_e32 v4, s23, v10
	v_mul_lo_u32 v4, v4, s33
	v_mov_b32_e32 v6, s7
	v_add_u32_e32 v4, s23, v4
	v_ashrrev_i32_e32 v5, 31, v4
	v_lshlrev_b64 v[4:5], 3, v[4:5]
	v_add_co_u32_e32 v4, vcc, s6, v4
	v_addc_co_u32_e32 v5, vcc, v6, v5, vcc
	global_load_dwordx2 v[6:7], v[4:5], off
.LBB45_28:                              ;   in Loop: Header=BB45_26 Depth=1
	s_ashr_i32 s18, s22, 31
	s_waitcnt vmcnt(0)
	v_mov_b32_e32 v5, s18
	v_ashrrev_i32_e32 v8, 31, v11
	v_add_co_u32_e32 v4, vcc, s22, v11
	v_addc_co_u32_e32 v5, vcc, v5, v8, vcc
	v_lshlrev_b64 v[4:5], 3, v[4:5]
	s_or_b64 s[12:13], s[12:13], exec
	v_add_co_u32_e32 v8, vcc, s8, v4
	v_addc_co_u32_e32 v9, vcc, v13, v5, vcc
	global_load_dwordx2 v[4:5], v[8:9], off offset:-8
	s_waitcnt vmcnt(1)
	v_cmp_neq_f64_e32 vcc, 0, v[6:7]
	s_and_saveexec_b64 s[18:19], vcc
	s_cbranch_execz .LBB45_30
; %bb.29:                               ;   in Loop: Header=BB45_26 Depth=1
	s_waitcnt vmcnt(0)
	v_div_scale_f64 v[14:15], s[24:25], v[6:7], v[6:7], v[4:5]
	s_andn2_b64 s[12:13], s[12:13], exec
	s_and_b64 s[20:21], s[20:21], exec
	s_or_b64 s[12:13], s[12:13], s[20:21]
	v_rcp_f64_e32 v[16:17], v[14:15]
	v_fma_f64 v[18:19], -v[14:15], v[16:17], 1.0
	v_fma_f64 v[16:17], v[16:17], v[18:19], v[16:17]
	v_div_scale_f64 v[18:19], vcc, v[4:5], v[6:7], v[4:5]
	v_fma_f64 v[20:21], -v[14:15], v[16:17], 1.0
	v_fma_f64 v[16:17], v[16:17], v[20:21], v[16:17]
	v_mul_f64 v[20:21], v[18:19], v[16:17]
	v_fma_f64 v[14:15], -v[14:15], v[20:21], v[18:19]
	v_div_fmas_f64 v[14:15], v[14:15], v[16:17], v[20:21]
	v_div_fixup_f64 v[4:5], v[14:15], v[6:7], v[4:5]
	global_store_dwordx2 v[8:9], v[4:5], off offset:-8
.LBB45_30:                              ;   in Loop: Header=BB45_26 Depth=1
	s_or_b64 exec, exec, s[18:19]
	v_cmp_gt_i32_e32 vcc, s23, v0
	s_and_saveexec_b64 s[18:19], vcc
	s_cbranch_execz .LBB45_35
; %bb.31:                               ;   in Loop: Header=BB45_26 Depth=1
	v_add_u32_e32 v6, s23, v10
	v_mul_lo_u32 v8, v6, s33
	s_mov_b64 s[20:21], 0
	v_mov_b32_e32 v9, v12
	v_mov_b32_e32 v14, v0
	s_branch .LBB45_33
.LBB45_32:                              ;   in Loop: Header=BB45_33 Depth=2
	v_ashrrev_i32_e32 v7, 31, v6
	v_lshlrev_b64 v[6:7], 3, v[6:7]
	v_mov_b32_e32 v15, s7
	v_add_co_u32_e32 v6, vcc, s6, v6
	v_addc_co_u32_e32 v7, vcc, v15, v7, vcc
	v_add_u32_e32 v15, v11, v14
	v_ashrrev_i32_e32 v16, 31, v15
	v_lshlrev_b64 v[15:16], 3, v[15:16]
	v_mov_b32_e32 v17, s9
	v_add_co_u32_e32 v15, vcc, s8, v15
	v_addc_co_u32_e32 v16, vcc, v17, v16, vcc
	global_load_dwordx2 v[6:7], v[6:7], off
	v_add_u32_e32 v14, 32, v14
	global_load_dwordx2 v[17:18], v[15:16], off
	v_cmp_le_i32_e32 vcc, s23, v14
	s_or_b64 s[20:21], vcc, s[20:21]
	v_add_u32_e32 v9, s17, v9
	s_waitcnt vmcnt(0)
	v_fma_f64 v[6:7], -v[4:5], v[6:7], v[17:18]
	global_store_dwordx2 v[15:16], v[6:7], off
	s_andn2_b64 exec, exec, s[20:21]
	s_cbranch_execz .LBB45_35
.LBB45_33:                              ;   Parent Loop BB45_26 Depth=1
                                        ; =>  This Inner Loop Header: Depth=2
	s_andn2_b64 vcc, exec, s[4:5]
	v_mov_b32_e32 v6, v9
	s_cbranch_vccnz .LBB45_32
; %bb.34:                               ;   in Loop: Header=BB45_33 Depth=2
	v_add_u32_e32 v6, v14, v8
	s_branch .LBB45_32
.LBB45_35:                              ;   in Loop: Header=BB45_26 Depth=1
	s_or_b64 exec, exec, s[18:19]
; %bb.36:                               ;   in Loop: Header=BB45_26 Depth=1
	s_cmp_lt_i32 s22, 2
	v_add_u32_e32 v12, -1, v12
	s_cbranch_scc1 .LBB45_38
; %bb.37:                               ;   in Loop: Header=BB45_26 Depth=1
	s_mov_b64 s[20:21], s[12:13]
	s_mov_b32 s22, s23
	s_branch .LBB45_26
.LBB45_38:
	s_and_b64 s[0:1], s[12:13], exec
.LBB45_39:
	s_or_b64 exec, exec, s[2:3]
	v_cmp_eq_u32_e32 vcc, 0, v0
	s_and_b64 exec, exec, vcc
	s_cbranch_execz .LBB45_45
; %bb.40:
	v_mov_b32_e32 v0, s11
	v_add_co_u32_e32 v2, vcc, s10, v2
	v_addc_co_u32_e32 v3, vcc, v0, v3, vcc
	v_mov_b32_e32 v0, 1
	s_waitcnt vmcnt(0)
	global_store_dword v[2:3], v0, off
	s_and_b64 exec, exec, s[0:1]
	s_cbranch_execz .LBB45_45
; %bb.41:
	s_mov_b64 s[0:1], exec
	v_add_u32_e32 v0, s16, v1
	s_brev_b32 s2, -2
.LBB45_42:                              ; =>This Inner Loop Header: Depth=1
	s_ff1_i32_b64 s3, s[0:1]
	v_readlane_b32 s6, v0, s3
	s_lshl_b64 s[4:5], 1, s3
	s_min_i32 s2, s2, s6
	s_andn2_b64 s[0:1], s[0:1], s[4:5]
	s_cmp_lg_u64 s[0:1], 0
	s_cbranch_scc1 .LBB45_42
; %bb.43:
	v_mbcnt_lo_u32_b32 v0, exec_lo, 0
	v_mbcnt_hi_u32_b32 v0, exec_hi, v0
	v_cmp_eq_u32_e32 vcc, 0, v0
	s_and_saveexec_b64 s[0:1], vcc
	s_xor_b64 s[0:1], exec, s[0:1]
	s_cbranch_execz .LBB45_45
; %bb.44:
	v_mov_b32_e32 v0, 0
	v_mov_b32_e32 v1, s2
	global_atomic_smin v0, v1, s[14:15]
.LBB45_45:
	s_endpgm
	.section	.rodata,"a",@progbits
	.p2align	6, 0x0
	.amdhsa_kernel _ZN9rocsparseL19bsrsv_upper_generalILj128ELj32ELb0EdEEviNS_24const_host_device_scalarIT2_EEPKiS5_PKS2_iS7_PS2_PiS9_S9_21rocsparse_index_base_20rocsparse_diag_type_20rocsparse_direction_b
		.amdhsa_group_segment_fixed_size 0
		.amdhsa_private_segment_fixed_size 0
		.amdhsa_kernarg_size 104
		.amdhsa_user_sgpr_count 6
		.amdhsa_user_sgpr_private_segment_buffer 1
		.amdhsa_user_sgpr_dispatch_ptr 0
		.amdhsa_user_sgpr_queue_ptr 0
		.amdhsa_user_sgpr_kernarg_segment_ptr 1
		.amdhsa_user_sgpr_dispatch_id 0
		.amdhsa_user_sgpr_flat_scratch_init 0
		.amdhsa_user_sgpr_private_segment_size 0
		.amdhsa_uses_dynamic_stack 0
		.amdhsa_system_sgpr_private_segment_wavefront_offset 0
		.amdhsa_system_sgpr_workgroup_id_x 1
		.amdhsa_system_sgpr_workgroup_id_y 0
		.amdhsa_system_sgpr_workgroup_id_z 0
		.amdhsa_system_sgpr_workgroup_info 0
		.amdhsa_system_vgpr_workitem_id 0
		.amdhsa_next_free_vgpr 22
		.amdhsa_next_free_sgpr 35
		.amdhsa_reserve_vcc 1
		.amdhsa_reserve_flat_scratch 0
		.amdhsa_float_round_mode_32 0
		.amdhsa_float_round_mode_16_64 0
		.amdhsa_float_denorm_mode_32 3
		.amdhsa_float_denorm_mode_16_64 3
		.amdhsa_dx10_clamp 1
		.amdhsa_ieee_mode 1
		.amdhsa_fp16_overflow 0
		.amdhsa_exception_fp_ieee_invalid_op 0
		.amdhsa_exception_fp_denorm_src 0
		.amdhsa_exception_fp_ieee_div_zero 0
		.amdhsa_exception_fp_ieee_overflow 0
		.amdhsa_exception_fp_ieee_underflow 0
		.amdhsa_exception_fp_ieee_inexact 0
		.amdhsa_exception_int_div_zero 0
	.end_amdhsa_kernel
	.section	.text._ZN9rocsparseL19bsrsv_upper_generalILj128ELj32ELb0EdEEviNS_24const_host_device_scalarIT2_EEPKiS5_PKS2_iS7_PS2_PiS9_S9_21rocsparse_index_base_20rocsparse_diag_type_20rocsparse_direction_b,"axG",@progbits,_ZN9rocsparseL19bsrsv_upper_generalILj128ELj32ELb0EdEEviNS_24const_host_device_scalarIT2_EEPKiS5_PKS2_iS7_PS2_PiS9_S9_21rocsparse_index_base_20rocsparse_diag_type_20rocsparse_direction_b,comdat
.Lfunc_end45:
	.size	_ZN9rocsparseL19bsrsv_upper_generalILj128ELj32ELb0EdEEviNS_24const_host_device_scalarIT2_EEPKiS5_PKS2_iS7_PS2_PiS9_S9_21rocsparse_index_base_20rocsparse_diag_type_20rocsparse_direction_b, .Lfunc_end45-_ZN9rocsparseL19bsrsv_upper_generalILj128ELj32ELb0EdEEviNS_24const_host_device_scalarIT2_EEPKiS5_PKS2_iS7_PS2_PiS9_S9_21rocsparse_index_base_20rocsparse_diag_type_20rocsparse_direction_b
                                        ; -- End function
	.set _ZN9rocsparseL19bsrsv_upper_generalILj128ELj32ELb0EdEEviNS_24const_host_device_scalarIT2_EEPKiS5_PKS2_iS7_PS2_PiS9_S9_21rocsparse_index_base_20rocsparse_diag_type_20rocsparse_direction_b.num_vgpr, 22
	.set _ZN9rocsparseL19bsrsv_upper_generalILj128ELj32ELb0EdEEviNS_24const_host_device_scalarIT2_EEPKiS5_PKS2_iS7_PS2_PiS9_S9_21rocsparse_index_base_20rocsparse_diag_type_20rocsparse_direction_b.num_agpr, 0
	.set _ZN9rocsparseL19bsrsv_upper_generalILj128ELj32ELb0EdEEviNS_24const_host_device_scalarIT2_EEPKiS5_PKS2_iS7_PS2_PiS9_S9_21rocsparse_index_base_20rocsparse_diag_type_20rocsparse_direction_b.numbered_sgpr, 35
	.set _ZN9rocsparseL19bsrsv_upper_generalILj128ELj32ELb0EdEEviNS_24const_host_device_scalarIT2_EEPKiS5_PKS2_iS7_PS2_PiS9_S9_21rocsparse_index_base_20rocsparse_diag_type_20rocsparse_direction_b.num_named_barrier, 0
	.set _ZN9rocsparseL19bsrsv_upper_generalILj128ELj32ELb0EdEEviNS_24const_host_device_scalarIT2_EEPKiS5_PKS2_iS7_PS2_PiS9_S9_21rocsparse_index_base_20rocsparse_diag_type_20rocsparse_direction_b.private_seg_size, 0
	.set _ZN9rocsparseL19bsrsv_upper_generalILj128ELj32ELb0EdEEviNS_24const_host_device_scalarIT2_EEPKiS5_PKS2_iS7_PS2_PiS9_S9_21rocsparse_index_base_20rocsparse_diag_type_20rocsparse_direction_b.uses_vcc, 1
	.set _ZN9rocsparseL19bsrsv_upper_generalILj128ELj32ELb0EdEEviNS_24const_host_device_scalarIT2_EEPKiS5_PKS2_iS7_PS2_PiS9_S9_21rocsparse_index_base_20rocsparse_diag_type_20rocsparse_direction_b.uses_flat_scratch, 0
	.set _ZN9rocsparseL19bsrsv_upper_generalILj128ELj32ELb0EdEEviNS_24const_host_device_scalarIT2_EEPKiS5_PKS2_iS7_PS2_PiS9_S9_21rocsparse_index_base_20rocsparse_diag_type_20rocsparse_direction_b.has_dyn_sized_stack, 0
	.set _ZN9rocsparseL19bsrsv_upper_generalILj128ELj32ELb0EdEEviNS_24const_host_device_scalarIT2_EEPKiS5_PKS2_iS7_PS2_PiS9_S9_21rocsparse_index_base_20rocsparse_diag_type_20rocsparse_direction_b.has_recursion, 0
	.set _ZN9rocsparseL19bsrsv_upper_generalILj128ELj32ELb0EdEEviNS_24const_host_device_scalarIT2_EEPKiS5_PKS2_iS7_PS2_PiS9_S9_21rocsparse_index_base_20rocsparse_diag_type_20rocsparse_direction_b.has_indirect_call, 0
	.section	.AMDGPU.csdata,"",@progbits
; Kernel info:
; codeLenInByte = 1616
; TotalNumSgprs: 39
; NumVgprs: 22
; ScratchSize: 0
; MemoryBound: 0
; FloatMode: 240
; IeeeMode: 1
; LDSByteSize: 0 bytes/workgroup (compile time only)
; SGPRBlocks: 4
; VGPRBlocks: 5
; NumSGPRsForWavesPerEU: 39
; NumVGPRsForWavesPerEU: 22
; Occupancy: 10
; WaveLimiterHint : 1
; COMPUTE_PGM_RSRC2:SCRATCH_EN: 0
; COMPUTE_PGM_RSRC2:USER_SGPR: 6
; COMPUTE_PGM_RSRC2:TRAP_HANDLER: 0
; COMPUTE_PGM_RSRC2:TGID_X_EN: 1
; COMPUTE_PGM_RSRC2:TGID_Y_EN: 0
; COMPUTE_PGM_RSRC2:TGID_Z_EN: 0
; COMPUTE_PGM_RSRC2:TIDIG_COMP_CNT: 0
	.section	.text._ZN9rocsparseL10bsr_gatherILj4ELj64ELj2Ei21rocsparse_complex_numIfEEEv20rocsparse_direction_T2_PKS4_PKT3_PS7_S4_,"axG",@progbits,_ZN9rocsparseL10bsr_gatherILj4ELj64ELj2Ei21rocsparse_complex_numIfEEEv20rocsparse_direction_T2_PKS4_PKT3_PS7_S4_,comdat
	.globl	_ZN9rocsparseL10bsr_gatherILj4ELj64ELj2Ei21rocsparse_complex_numIfEEEv20rocsparse_direction_T2_PKS4_PKT3_PS7_S4_ ; -- Begin function _ZN9rocsparseL10bsr_gatherILj4ELj64ELj2Ei21rocsparse_complex_numIfEEEv20rocsparse_direction_T2_PKS4_PKT3_PS7_S4_
	.p2align	8
	.type	_ZN9rocsparseL10bsr_gatherILj4ELj64ELj2Ei21rocsparse_complex_numIfEEEv20rocsparse_direction_T2_PKS4_PKT3_PS7_S4_,@function
_ZN9rocsparseL10bsr_gatherILj4ELj64ELj2Ei21rocsparse_complex_numIfEEEv20rocsparse_direction_T2_PKS4_PKT3_PS7_S4_: ; @_ZN9rocsparseL10bsr_gatherILj4ELj64ELj2Ei21rocsparse_complex_numIfEEEv20rocsparse_direction_T2_PKS4_PKT3_PS7_S4_
; %bb.0:
	s_load_dwordx2 s[8:9], s[4:5], 0x0
	v_lshl_add_u32 v2, s6, 6, v1
	s_waitcnt lgkmcnt(0)
	v_cmp_gt_i32_e32 vcc, s9, v2
	s_and_saveexec_b64 s[0:1], vcc
	s_cbranch_execz .LBB46_15
; %bb.1:
	s_load_dword s16, s[4:5], 0x20
	v_and_b32_e32 v1, 1, v0
	s_waitcnt lgkmcnt(0)
	v_cmp_gt_i32_e32 vcc, s16, v1
	s_and_b64 exec, exec, vcc
	s_cbranch_execz .LBB46_15
; %bb.2:
	s_load_dwordx4 s[0:3], s[4:5], 0x8
	s_load_dwordx2 s[6:7], s[4:5], 0x18
	v_ashrrev_i32_e32 v3, 31, v2
	v_lshlrev_b64 v[3:4], 2, v[2:3]
	v_mul_lo_u32 v6, s16, v2
	s_waitcnt lgkmcnt(0)
	v_mov_b32_e32 v5, s1
	v_add_co_u32_e32 v3, vcc, s0, v3
	v_addc_co_u32_e32 v4, vcc, v5, v4, vcc
	global_load_dword v3, v[3:4], off
	v_add_u32_e32 v2, v6, v1
	v_mul_lo_u32 v8, s16, v2
	v_lshrrev_b32_e32 v0, 1, v0
	s_cmp_lg_u32 s8, 0
	v_cmp_gt_u32_e64 s[0:1], s16, v0
	s_cselect_b64 s[4:5], -1, 0
	s_lshl_b32 s17, s16, 1
	s_mov_b64 s[8:9], 0
	s_waitcnt vmcnt(0)
	v_mul_lo_u32 v7, v3, s16
	v_add_u32_e32 v2, v7, v1
	v_mul_lo_u32 v9, s16, v2
	s_branch .LBB46_4
.LBB46_3:                               ;   in Loop: Header=BB46_4 Depth=1
	s_or_b64 exec, exec, s[10:11]
	v_add_u32_e32 v1, 2, v1
	v_cmp_le_i32_e32 vcc, s16, v1
	v_add_u32_e32 v8, s17, v8
	s_or_b64 s[8:9], vcc, s[8:9]
	v_add_u32_e32 v9, s17, v9
	s_andn2_b64 exec, exec, s[8:9]
	s_cbranch_execz .LBB46_15
.LBB46_4:                               ; =>This Loop Header: Depth=1
                                        ;     Child Loop BB46_7 Depth 2
	s_and_saveexec_b64 s[10:11], s[0:1]
	s_cbranch_execz .LBB46_3
; %bb.5:                                ;   in Loop: Header=BB46_4 Depth=1
	s_mov_b64 s[12:13], 0
	v_mov_b32_e32 v10, v0
	s_branch .LBB46_7
.LBB46_6:                               ;   in Loop: Header=BB46_7 Depth=2
	v_ashrrev_i32_e32 v3, 31, v2
	v_lshlrev_b64 v[2:3], 3, v[2:3]
	v_mov_b32_e32 v5, s3
	v_add_co_u32_e32 v2, vcc, s2, v2
	v_addc_co_u32_e32 v3, vcc, v5, v3, vcc
	global_load_dwordx2 v[2:3], v[2:3], off
	v_ashrrev_i32_e32 v5, 31, v4
	v_lshlrev_b64 v[4:5], 3, v[4:5]
	v_mov_b32_e32 v11, s7
	v_add_co_u32_e32 v4, vcc, s6, v4
	v_addc_co_u32_e32 v5, vcc, v11, v5, vcc
	v_add_u32_e32 v10, 2, v10
	v_cmp_le_i32_e32 vcc, s16, v10
	s_or_b64 s[12:13], vcc, s[12:13]
	s_waitcnt vmcnt(0)
	global_store_dwordx2 v[4:5], v[2:3], off
	s_andn2_b64 exec, exec, s[12:13]
	s_cbranch_execz .LBB46_3
.LBB46_7:                               ;   Parent Loop BB46_4 Depth=1
                                        ; =>  This Inner Loop Header: Depth=2
	s_and_b64 vcc, exec, s[4:5]
	s_cbranch_vccz .LBB46_12
; %bb.8:                                ;   in Loop: Header=BB46_7 Depth=2
	v_add_u32_e32 v2, v9, v10
	s_cbranch_execnz .LBB46_10
.LBB46_9:                               ;   in Loop: Header=BB46_7 Depth=2
	v_add_u32_e32 v2, v10, v7
	v_mad_u64_u32 v[2:3], s[14:15], v2, s16, v[1:2]
.LBB46_10:                              ;   in Loop: Header=BB46_7 Depth=2
	s_and_b64 vcc, exec, s[4:5]
	s_cbranch_vccz .LBB46_13
; %bb.11:                               ;   in Loop: Header=BB46_7 Depth=2
	v_add_u32_e32 v3, v10, v6
	v_mad_u64_u32 v[4:5], s[14:15], v3, s16, v[1:2]
	s_cbranch_execnz .LBB46_6
	s_branch .LBB46_14
.LBB46_12:                              ;   in Loop: Header=BB46_7 Depth=2
                                        ; implicit-def: $vgpr2
	s_branch .LBB46_9
.LBB46_13:                              ;   in Loop: Header=BB46_7 Depth=2
                                        ; implicit-def: $vgpr4
.LBB46_14:                              ;   in Loop: Header=BB46_7 Depth=2
	v_add_u32_e32 v4, v8, v10
	s_branch .LBB46_6
.LBB46_15:
	s_endpgm
	.section	.rodata,"a",@progbits
	.p2align	6, 0x0
	.amdhsa_kernel _ZN9rocsparseL10bsr_gatherILj4ELj64ELj2Ei21rocsparse_complex_numIfEEEv20rocsparse_direction_T2_PKS4_PKT3_PS7_S4_
		.amdhsa_group_segment_fixed_size 0
		.amdhsa_private_segment_fixed_size 0
		.amdhsa_kernarg_size 36
		.amdhsa_user_sgpr_count 6
		.amdhsa_user_sgpr_private_segment_buffer 1
		.amdhsa_user_sgpr_dispatch_ptr 0
		.amdhsa_user_sgpr_queue_ptr 0
		.amdhsa_user_sgpr_kernarg_segment_ptr 1
		.amdhsa_user_sgpr_dispatch_id 0
		.amdhsa_user_sgpr_flat_scratch_init 0
		.amdhsa_user_sgpr_private_segment_size 0
		.amdhsa_uses_dynamic_stack 0
		.amdhsa_system_sgpr_private_segment_wavefront_offset 0
		.amdhsa_system_sgpr_workgroup_id_x 1
		.amdhsa_system_sgpr_workgroup_id_y 0
		.amdhsa_system_sgpr_workgroup_id_z 0
		.amdhsa_system_sgpr_workgroup_info 0
		.amdhsa_system_vgpr_workitem_id 1
		.amdhsa_next_free_vgpr 12
		.amdhsa_next_free_sgpr 18
		.amdhsa_reserve_vcc 1
		.amdhsa_reserve_flat_scratch 0
		.amdhsa_float_round_mode_32 0
		.amdhsa_float_round_mode_16_64 0
		.amdhsa_float_denorm_mode_32 3
		.amdhsa_float_denorm_mode_16_64 3
		.amdhsa_dx10_clamp 1
		.amdhsa_ieee_mode 1
		.amdhsa_fp16_overflow 0
		.amdhsa_exception_fp_ieee_invalid_op 0
		.amdhsa_exception_fp_denorm_src 0
		.amdhsa_exception_fp_ieee_div_zero 0
		.amdhsa_exception_fp_ieee_overflow 0
		.amdhsa_exception_fp_ieee_underflow 0
		.amdhsa_exception_fp_ieee_inexact 0
		.amdhsa_exception_int_div_zero 0
	.end_amdhsa_kernel
	.section	.text._ZN9rocsparseL10bsr_gatherILj4ELj64ELj2Ei21rocsparse_complex_numIfEEEv20rocsparse_direction_T2_PKS4_PKT3_PS7_S4_,"axG",@progbits,_ZN9rocsparseL10bsr_gatherILj4ELj64ELj2Ei21rocsparse_complex_numIfEEEv20rocsparse_direction_T2_PKS4_PKT3_PS7_S4_,comdat
.Lfunc_end46:
	.size	_ZN9rocsparseL10bsr_gatherILj4ELj64ELj2Ei21rocsparse_complex_numIfEEEv20rocsparse_direction_T2_PKS4_PKT3_PS7_S4_, .Lfunc_end46-_ZN9rocsparseL10bsr_gatherILj4ELj64ELj2Ei21rocsparse_complex_numIfEEEv20rocsparse_direction_T2_PKS4_PKT3_PS7_S4_
                                        ; -- End function
	.set _ZN9rocsparseL10bsr_gatherILj4ELj64ELj2Ei21rocsparse_complex_numIfEEEv20rocsparse_direction_T2_PKS4_PKT3_PS7_S4_.num_vgpr, 12
	.set _ZN9rocsparseL10bsr_gatherILj4ELj64ELj2Ei21rocsparse_complex_numIfEEEv20rocsparse_direction_T2_PKS4_PKT3_PS7_S4_.num_agpr, 0
	.set _ZN9rocsparseL10bsr_gatherILj4ELj64ELj2Ei21rocsparse_complex_numIfEEEv20rocsparse_direction_T2_PKS4_PKT3_PS7_S4_.numbered_sgpr, 18
	.set _ZN9rocsparseL10bsr_gatherILj4ELj64ELj2Ei21rocsparse_complex_numIfEEEv20rocsparse_direction_T2_PKS4_PKT3_PS7_S4_.num_named_barrier, 0
	.set _ZN9rocsparseL10bsr_gatherILj4ELj64ELj2Ei21rocsparse_complex_numIfEEEv20rocsparse_direction_T2_PKS4_PKT3_PS7_S4_.private_seg_size, 0
	.set _ZN9rocsparseL10bsr_gatherILj4ELj64ELj2Ei21rocsparse_complex_numIfEEEv20rocsparse_direction_T2_PKS4_PKT3_PS7_S4_.uses_vcc, 1
	.set _ZN9rocsparseL10bsr_gatherILj4ELj64ELj2Ei21rocsparse_complex_numIfEEEv20rocsparse_direction_T2_PKS4_PKT3_PS7_S4_.uses_flat_scratch, 0
	.set _ZN9rocsparseL10bsr_gatherILj4ELj64ELj2Ei21rocsparse_complex_numIfEEEv20rocsparse_direction_T2_PKS4_PKT3_PS7_S4_.has_dyn_sized_stack, 0
	.set _ZN9rocsparseL10bsr_gatherILj4ELj64ELj2Ei21rocsparse_complex_numIfEEEv20rocsparse_direction_T2_PKS4_PKT3_PS7_S4_.has_recursion, 0
	.set _ZN9rocsparseL10bsr_gatherILj4ELj64ELj2Ei21rocsparse_complex_numIfEEEv20rocsparse_direction_T2_PKS4_PKT3_PS7_S4_.has_indirect_call, 0
	.section	.AMDGPU.csdata,"",@progbits
; Kernel info:
; codeLenInByte = 400
; TotalNumSgprs: 22
; NumVgprs: 12
; ScratchSize: 0
; MemoryBound: 0
; FloatMode: 240
; IeeeMode: 1
; LDSByteSize: 0 bytes/workgroup (compile time only)
; SGPRBlocks: 2
; VGPRBlocks: 2
; NumSGPRsForWavesPerEU: 22
; NumVGPRsForWavesPerEU: 12
; Occupancy: 10
; WaveLimiterHint : 0
; COMPUTE_PGM_RSRC2:SCRATCH_EN: 0
; COMPUTE_PGM_RSRC2:USER_SGPR: 6
; COMPUTE_PGM_RSRC2:TRAP_HANDLER: 0
; COMPUTE_PGM_RSRC2:TGID_X_EN: 1
; COMPUTE_PGM_RSRC2:TGID_Y_EN: 0
; COMPUTE_PGM_RSRC2:TGID_Z_EN: 0
; COMPUTE_PGM_RSRC2:TIDIG_COMP_CNT: 1
	.section	.text._ZN9rocsparseL10bsr_gatherILj16ELj16ELj4Ei21rocsparse_complex_numIfEEEv20rocsparse_direction_T2_PKS4_PKT3_PS7_S4_,"axG",@progbits,_ZN9rocsparseL10bsr_gatherILj16ELj16ELj4Ei21rocsparse_complex_numIfEEEv20rocsparse_direction_T2_PKS4_PKT3_PS7_S4_,comdat
	.globl	_ZN9rocsparseL10bsr_gatherILj16ELj16ELj4Ei21rocsparse_complex_numIfEEEv20rocsparse_direction_T2_PKS4_PKT3_PS7_S4_ ; -- Begin function _ZN9rocsparseL10bsr_gatherILj16ELj16ELj4Ei21rocsparse_complex_numIfEEEv20rocsparse_direction_T2_PKS4_PKT3_PS7_S4_
	.p2align	8
	.type	_ZN9rocsparseL10bsr_gatherILj16ELj16ELj4Ei21rocsparse_complex_numIfEEEv20rocsparse_direction_T2_PKS4_PKT3_PS7_S4_,@function
_ZN9rocsparseL10bsr_gatherILj16ELj16ELj4Ei21rocsparse_complex_numIfEEEv20rocsparse_direction_T2_PKS4_PKT3_PS7_S4_: ; @_ZN9rocsparseL10bsr_gatherILj16ELj16ELj4Ei21rocsparse_complex_numIfEEEv20rocsparse_direction_T2_PKS4_PKT3_PS7_S4_
; %bb.0:
	s_load_dwordx2 s[8:9], s[4:5], 0x0
	v_lshl_add_u32 v2, s6, 4, v1
	s_waitcnt lgkmcnt(0)
	v_cmp_gt_i32_e32 vcc, s9, v2
	s_and_saveexec_b64 s[0:1], vcc
	s_cbranch_execz .LBB47_15
; %bb.1:
	s_load_dword s16, s[4:5], 0x20
	v_and_b32_e32 v1, 3, v0
	s_waitcnt lgkmcnt(0)
	v_cmp_gt_i32_e32 vcc, s16, v1
	s_and_b64 exec, exec, vcc
	s_cbranch_execz .LBB47_15
; %bb.2:
	s_load_dwordx4 s[0:3], s[4:5], 0x8
	s_load_dwordx2 s[6:7], s[4:5], 0x18
	v_ashrrev_i32_e32 v3, 31, v2
	v_lshlrev_b64 v[3:4], 2, v[2:3]
	v_mul_lo_u32 v6, s16, v2
	s_waitcnt lgkmcnt(0)
	v_mov_b32_e32 v5, s1
	v_add_co_u32_e32 v3, vcc, s0, v3
	v_addc_co_u32_e32 v4, vcc, v5, v4, vcc
	global_load_dword v3, v[3:4], off
	v_add_u32_e32 v2, v6, v1
	v_mul_lo_u32 v8, s16, v2
	v_lshrrev_b32_e32 v0, 2, v0
	s_cmp_lg_u32 s8, 0
	v_cmp_gt_u32_e64 s[0:1], s16, v0
	s_cselect_b64 s[4:5], -1, 0
	s_lshl_b32 s17, s16, 2
	s_mov_b64 s[8:9], 0
	s_waitcnt vmcnt(0)
	v_mul_lo_u32 v7, v3, s16
	v_add_u32_e32 v2, v7, v1
	v_mul_lo_u32 v9, s16, v2
	s_branch .LBB47_4
.LBB47_3:                               ;   in Loop: Header=BB47_4 Depth=1
	s_or_b64 exec, exec, s[10:11]
	v_add_u32_e32 v1, 4, v1
	v_cmp_le_i32_e32 vcc, s16, v1
	v_add_u32_e32 v8, s17, v8
	s_or_b64 s[8:9], vcc, s[8:9]
	v_add_u32_e32 v9, s17, v9
	s_andn2_b64 exec, exec, s[8:9]
	s_cbranch_execz .LBB47_15
.LBB47_4:                               ; =>This Loop Header: Depth=1
                                        ;     Child Loop BB47_7 Depth 2
	s_and_saveexec_b64 s[10:11], s[0:1]
	s_cbranch_execz .LBB47_3
; %bb.5:                                ;   in Loop: Header=BB47_4 Depth=1
	s_mov_b64 s[12:13], 0
	v_mov_b32_e32 v10, v0
	s_branch .LBB47_7
.LBB47_6:                               ;   in Loop: Header=BB47_7 Depth=2
	v_ashrrev_i32_e32 v3, 31, v2
	v_lshlrev_b64 v[2:3], 3, v[2:3]
	v_mov_b32_e32 v5, s3
	v_add_co_u32_e32 v2, vcc, s2, v2
	v_addc_co_u32_e32 v3, vcc, v5, v3, vcc
	global_load_dwordx2 v[2:3], v[2:3], off
	v_ashrrev_i32_e32 v5, 31, v4
	v_lshlrev_b64 v[4:5], 3, v[4:5]
	v_mov_b32_e32 v11, s7
	v_add_co_u32_e32 v4, vcc, s6, v4
	v_addc_co_u32_e32 v5, vcc, v11, v5, vcc
	v_add_u32_e32 v10, 4, v10
	v_cmp_le_i32_e32 vcc, s16, v10
	s_or_b64 s[12:13], vcc, s[12:13]
	s_waitcnt vmcnt(0)
	global_store_dwordx2 v[4:5], v[2:3], off
	s_andn2_b64 exec, exec, s[12:13]
	s_cbranch_execz .LBB47_3
.LBB47_7:                               ;   Parent Loop BB47_4 Depth=1
                                        ; =>  This Inner Loop Header: Depth=2
	s_and_b64 vcc, exec, s[4:5]
	s_cbranch_vccz .LBB47_12
; %bb.8:                                ;   in Loop: Header=BB47_7 Depth=2
	v_add_u32_e32 v2, v9, v10
	s_cbranch_execnz .LBB47_10
.LBB47_9:                               ;   in Loop: Header=BB47_7 Depth=2
	v_add_u32_e32 v2, v10, v7
	v_mad_u64_u32 v[2:3], s[14:15], v2, s16, v[1:2]
.LBB47_10:                              ;   in Loop: Header=BB47_7 Depth=2
	s_and_b64 vcc, exec, s[4:5]
	s_cbranch_vccz .LBB47_13
; %bb.11:                               ;   in Loop: Header=BB47_7 Depth=2
	v_add_u32_e32 v3, v10, v6
	v_mad_u64_u32 v[4:5], s[14:15], v3, s16, v[1:2]
	s_cbranch_execnz .LBB47_6
	s_branch .LBB47_14
.LBB47_12:                              ;   in Loop: Header=BB47_7 Depth=2
                                        ; implicit-def: $vgpr2
	s_branch .LBB47_9
.LBB47_13:                              ;   in Loop: Header=BB47_7 Depth=2
                                        ; implicit-def: $vgpr4
.LBB47_14:                              ;   in Loop: Header=BB47_7 Depth=2
	v_add_u32_e32 v4, v8, v10
	s_branch .LBB47_6
.LBB47_15:
	s_endpgm
	.section	.rodata,"a",@progbits
	.p2align	6, 0x0
	.amdhsa_kernel _ZN9rocsparseL10bsr_gatherILj16ELj16ELj4Ei21rocsparse_complex_numIfEEEv20rocsparse_direction_T2_PKS4_PKT3_PS7_S4_
		.amdhsa_group_segment_fixed_size 0
		.amdhsa_private_segment_fixed_size 0
		.amdhsa_kernarg_size 36
		.amdhsa_user_sgpr_count 6
		.amdhsa_user_sgpr_private_segment_buffer 1
		.amdhsa_user_sgpr_dispatch_ptr 0
		.amdhsa_user_sgpr_queue_ptr 0
		.amdhsa_user_sgpr_kernarg_segment_ptr 1
		.amdhsa_user_sgpr_dispatch_id 0
		.amdhsa_user_sgpr_flat_scratch_init 0
		.amdhsa_user_sgpr_private_segment_size 0
		.amdhsa_uses_dynamic_stack 0
		.amdhsa_system_sgpr_private_segment_wavefront_offset 0
		.amdhsa_system_sgpr_workgroup_id_x 1
		.amdhsa_system_sgpr_workgroup_id_y 0
		.amdhsa_system_sgpr_workgroup_id_z 0
		.amdhsa_system_sgpr_workgroup_info 0
		.amdhsa_system_vgpr_workitem_id 1
		.amdhsa_next_free_vgpr 12
		.amdhsa_next_free_sgpr 18
		.amdhsa_reserve_vcc 1
		.amdhsa_reserve_flat_scratch 0
		.amdhsa_float_round_mode_32 0
		.amdhsa_float_round_mode_16_64 0
		.amdhsa_float_denorm_mode_32 3
		.amdhsa_float_denorm_mode_16_64 3
		.amdhsa_dx10_clamp 1
		.amdhsa_ieee_mode 1
		.amdhsa_fp16_overflow 0
		.amdhsa_exception_fp_ieee_invalid_op 0
		.amdhsa_exception_fp_denorm_src 0
		.amdhsa_exception_fp_ieee_div_zero 0
		.amdhsa_exception_fp_ieee_overflow 0
		.amdhsa_exception_fp_ieee_underflow 0
		.amdhsa_exception_fp_ieee_inexact 0
		.amdhsa_exception_int_div_zero 0
	.end_amdhsa_kernel
	.section	.text._ZN9rocsparseL10bsr_gatherILj16ELj16ELj4Ei21rocsparse_complex_numIfEEEv20rocsparse_direction_T2_PKS4_PKT3_PS7_S4_,"axG",@progbits,_ZN9rocsparseL10bsr_gatherILj16ELj16ELj4Ei21rocsparse_complex_numIfEEEv20rocsparse_direction_T2_PKS4_PKT3_PS7_S4_,comdat
.Lfunc_end47:
	.size	_ZN9rocsparseL10bsr_gatherILj16ELj16ELj4Ei21rocsparse_complex_numIfEEEv20rocsparse_direction_T2_PKS4_PKT3_PS7_S4_, .Lfunc_end47-_ZN9rocsparseL10bsr_gatherILj16ELj16ELj4Ei21rocsparse_complex_numIfEEEv20rocsparse_direction_T2_PKS4_PKT3_PS7_S4_
                                        ; -- End function
	.set _ZN9rocsparseL10bsr_gatherILj16ELj16ELj4Ei21rocsparse_complex_numIfEEEv20rocsparse_direction_T2_PKS4_PKT3_PS7_S4_.num_vgpr, 12
	.set _ZN9rocsparseL10bsr_gatherILj16ELj16ELj4Ei21rocsparse_complex_numIfEEEv20rocsparse_direction_T2_PKS4_PKT3_PS7_S4_.num_agpr, 0
	.set _ZN9rocsparseL10bsr_gatherILj16ELj16ELj4Ei21rocsparse_complex_numIfEEEv20rocsparse_direction_T2_PKS4_PKT3_PS7_S4_.numbered_sgpr, 18
	.set _ZN9rocsparseL10bsr_gatherILj16ELj16ELj4Ei21rocsparse_complex_numIfEEEv20rocsparse_direction_T2_PKS4_PKT3_PS7_S4_.num_named_barrier, 0
	.set _ZN9rocsparseL10bsr_gatherILj16ELj16ELj4Ei21rocsparse_complex_numIfEEEv20rocsparse_direction_T2_PKS4_PKT3_PS7_S4_.private_seg_size, 0
	.set _ZN9rocsparseL10bsr_gatherILj16ELj16ELj4Ei21rocsparse_complex_numIfEEEv20rocsparse_direction_T2_PKS4_PKT3_PS7_S4_.uses_vcc, 1
	.set _ZN9rocsparseL10bsr_gatherILj16ELj16ELj4Ei21rocsparse_complex_numIfEEEv20rocsparse_direction_T2_PKS4_PKT3_PS7_S4_.uses_flat_scratch, 0
	.set _ZN9rocsparseL10bsr_gatherILj16ELj16ELj4Ei21rocsparse_complex_numIfEEEv20rocsparse_direction_T2_PKS4_PKT3_PS7_S4_.has_dyn_sized_stack, 0
	.set _ZN9rocsparseL10bsr_gatherILj16ELj16ELj4Ei21rocsparse_complex_numIfEEEv20rocsparse_direction_T2_PKS4_PKT3_PS7_S4_.has_recursion, 0
	.set _ZN9rocsparseL10bsr_gatherILj16ELj16ELj4Ei21rocsparse_complex_numIfEEEv20rocsparse_direction_T2_PKS4_PKT3_PS7_S4_.has_indirect_call, 0
	.section	.AMDGPU.csdata,"",@progbits
; Kernel info:
; codeLenInByte = 400
; TotalNumSgprs: 22
; NumVgprs: 12
; ScratchSize: 0
; MemoryBound: 0
; FloatMode: 240
; IeeeMode: 1
; LDSByteSize: 0 bytes/workgroup (compile time only)
; SGPRBlocks: 2
; VGPRBlocks: 2
; NumSGPRsForWavesPerEU: 22
; NumVGPRsForWavesPerEU: 12
; Occupancy: 10
; WaveLimiterHint : 0
; COMPUTE_PGM_RSRC2:SCRATCH_EN: 0
; COMPUTE_PGM_RSRC2:USER_SGPR: 6
; COMPUTE_PGM_RSRC2:TRAP_HANDLER: 0
; COMPUTE_PGM_RSRC2:TGID_X_EN: 1
; COMPUTE_PGM_RSRC2:TGID_Y_EN: 0
; COMPUTE_PGM_RSRC2:TGID_Z_EN: 0
; COMPUTE_PGM_RSRC2:TIDIG_COMP_CNT: 1
	.section	.text._ZN9rocsparseL10bsr_gatherILj64ELj4ELj8Ei21rocsparse_complex_numIfEEEv20rocsparse_direction_T2_PKS4_PKT3_PS7_S4_,"axG",@progbits,_ZN9rocsparseL10bsr_gatherILj64ELj4ELj8Ei21rocsparse_complex_numIfEEEv20rocsparse_direction_T2_PKS4_PKT3_PS7_S4_,comdat
	.globl	_ZN9rocsparseL10bsr_gatherILj64ELj4ELj8Ei21rocsparse_complex_numIfEEEv20rocsparse_direction_T2_PKS4_PKT3_PS7_S4_ ; -- Begin function _ZN9rocsparseL10bsr_gatherILj64ELj4ELj8Ei21rocsparse_complex_numIfEEEv20rocsparse_direction_T2_PKS4_PKT3_PS7_S4_
	.p2align	8
	.type	_ZN9rocsparseL10bsr_gatherILj64ELj4ELj8Ei21rocsparse_complex_numIfEEEv20rocsparse_direction_T2_PKS4_PKT3_PS7_S4_,@function
_ZN9rocsparseL10bsr_gatherILj64ELj4ELj8Ei21rocsparse_complex_numIfEEEv20rocsparse_direction_T2_PKS4_PKT3_PS7_S4_: ; @_ZN9rocsparseL10bsr_gatherILj64ELj4ELj8Ei21rocsparse_complex_numIfEEEv20rocsparse_direction_T2_PKS4_PKT3_PS7_S4_
; %bb.0:
	s_load_dwordx2 s[8:9], s[4:5], 0x0
	v_lshl_add_u32 v2, s6, 2, v1
	s_waitcnt lgkmcnt(0)
	v_cmp_gt_i32_e32 vcc, s9, v2
	s_and_saveexec_b64 s[0:1], vcc
	s_cbranch_execz .LBB48_15
; %bb.1:
	s_load_dword s16, s[4:5], 0x20
	v_and_b32_e32 v1, 7, v0
	s_waitcnt lgkmcnt(0)
	v_cmp_gt_i32_e32 vcc, s16, v1
	s_and_b64 exec, exec, vcc
	s_cbranch_execz .LBB48_15
; %bb.2:
	s_load_dwordx4 s[0:3], s[4:5], 0x8
	s_load_dwordx2 s[6:7], s[4:5], 0x18
	v_ashrrev_i32_e32 v3, 31, v2
	v_lshlrev_b64 v[3:4], 2, v[2:3]
	v_mul_lo_u32 v6, s16, v2
	s_waitcnt lgkmcnt(0)
	v_mov_b32_e32 v5, s1
	v_add_co_u32_e32 v3, vcc, s0, v3
	v_addc_co_u32_e32 v4, vcc, v5, v4, vcc
	global_load_dword v3, v[3:4], off
	v_add_u32_e32 v2, v6, v1
	v_mul_lo_u32 v8, s16, v2
	v_lshrrev_b32_e32 v0, 3, v0
	s_cmp_lg_u32 s8, 0
	v_cmp_gt_u32_e64 s[0:1], s16, v0
	s_cselect_b64 s[4:5], -1, 0
	s_lshl_b32 s17, s16, 3
	s_mov_b64 s[8:9], 0
	s_waitcnt vmcnt(0)
	v_mul_lo_u32 v7, v3, s16
	v_add_u32_e32 v2, v7, v1
	v_mul_lo_u32 v9, s16, v2
	s_branch .LBB48_4
.LBB48_3:                               ;   in Loop: Header=BB48_4 Depth=1
	s_or_b64 exec, exec, s[10:11]
	v_add_u32_e32 v1, 8, v1
	v_cmp_le_i32_e32 vcc, s16, v1
	v_add_u32_e32 v8, s17, v8
	s_or_b64 s[8:9], vcc, s[8:9]
	v_add_u32_e32 v9, s17, v9
	s_andn2_b64 exec, exec, s[8:9]
	s_cbranch_execz .LBB48_15
.LBB48_4:                               ; =>This Loop Header: Depth=1
                                        ;     Child Loop BB48_7 Depth 2
	s_and_saveexec_b64 s[10:11], s[0:1]
	s_cbranch_execz .LBB48_3
; %bb.5:                                ;   in Loop: Header=BB48_4 Depth=1
	s_mov_b64 s[12:13], 0
	v_mov_b32_e32 v10, v0
	s_branch .LBB48_7
.LBB48_6:                               ;   in Loop: Header=BB48_7 Depth=2
	v_ashrrev_i32_e32 v3, 31, v2
	v_lshlrev_b64 v[2:3], 3, v[2:3]
	v_mov_b32_e32 v5, s3
	v_add_co_u32_e32 v2, vcc, s2, v2
	v_addc_co_u32_e32 v3, vcc, v5, v3, vcc
	global_load_dwordx2 v[2:3], v[2:3], off
	v_ashrrev_i32_e32 v5, 31, v4
	v_lshlrev_b64 v[4:5], 3, v[4:5]
	v_mov_b32_e32 v11, s7
	v_add_co_u32_e32 v4, vcc, s6, v4
	v_addc_co_u32_e32 v5, vcc, v11, v5, vcc
	v_add_u32_e32 v10, 8, v10
	v_cmp_le_i32_e32 vcc, s16, v10
	s_or_b64 s[12:13], vcc, s[12:13]
	s_waitcnt vmcnt(0)
	global_store_dwordx2 v[4:5], v[2:3], off
	s_andn2_b64 exec, exec, s[12:13]
	s_cbranch_execz .LBB48_3
.LBB48_7:                               ;   Parent Loop BB48_4 Depth=1
                                        ; =>  This Inner Loop Header: Depth=2
	s_and_b64 vcc, exec, s[4:5]
	s_cbranch_vccz .LBB48_12
; %bb.8:                                ;   in Loop: Header=BB48_7 Depth=2
	v_add_u32_e32 v2, v9, v10
	s_cbranch_execnz .LBB48_10
.LBB48_9:                               ;   in Loop: Header=BB48_7 Depth=2
	v_add_u32_e32 v2, v10, v7
	v_mad_u64_u32 v[2:3], s[14:15], v2, s16, v[1:2]
.LBB48_10:                              ;   in Loop: Header=BB48_7 Depth=2
	s_and_b64 vcc, exec, s[4:5]
	s_cbranch_vccz .LBB48_13
; %bb.11:                               ;   in Loop: Header=BB48_7 Depth=2
	v_add_u32_e32 v3, v10, v6
	v_mad_u64_u32 v[4:5], s[14:15], v3, s16, v[1:2]
	s_cbranch_execnz .LBB48_6
	s_branch .LBB48_14
.LBB48_12:                              ;   in Loop: Header=BB48_7 Depth=2
                                        ; implicit-def: $vgpr2
	s_branch .LBB48_9
.LBB48_13:                              ;   in Loop: Header=BB48_7 Depth=2
                                        ; implicit-def: $vgpr4
.LBB48_14:                              ;   in Loop: Header=BB48_7 Depth=2
	v_add_u32_e32 v4, v8, v10
	s_branch .LBB48_6
.LBB48_15:
	s_endpgm
	.section	.rodata,"a",@progbits
	.p2align	6, 0x0
	.amdhsa_kernel _ZN9rocsparseL10bsr_gatherILj64ELj4ELj8Ei21rocsparse_complex_numIfEEEv20rocsparse_direction_T2_PKS4_PKT3_PS7_S4_
		.amdhsa_group_segment_fixed_size 0
		.amdhsa_private_segment_fixed_size 0
		.amdhsa_kernarg_size 36
		.amdhsa_user_sgpr_count 6
		.amdhsa_user_sgpr_private_segment_buffer 1
		.amdhsa_user_sgpr_dispatch_ptr 0
		.amdhsa_user_sgpr_queue_ptr 0
		.amdhsa_user_sgpr_kernarg_segment_ptr 1
		.amdhsa_user_sgpr_dispatch_id 0
		.amdhsa_user_sgpr_flat_scratch_init 0
		.amdhsa_user_sgpr_private_segment_size 0
		.amdhsa_uses_dynamic_stack 0
		.amdhsa_system_sgpr_private_segment_wavefront_offset 0
		.amdhsa_system_sgpr_workgroup_id_x 1
		.amdhsa_system_sgpr_workgroup_id_y 0
		.amdhsa_system_sgpr_workgroup_id_z 0
		.amdhsa_system_sgpr_workgroup_info 0
		.amdhsa_system_vgpr_workitem_id 1
		.amdhsa_next_free_vgpr 12
		.amdhsa_next_free_sgpr 18
		.amdhsa_reserve_vcc 1
		.amdhsa_reserve_flat_scratch 0
		.amdhsa_float_round_mode_32 0
		.amdhsa_float_round_mode_16_64 0
		.amdhsa_float_denorm_mode_32 3
		.amdhsa_float_denorm_mode_16_64 3
		.amdhsa_dx10_clamp 1
		.amdhsa_ieee_mode 1
		.amdhsa_fp16_overflow 0
		.amdhsa_exception_fp_ieee_invalid_op 0
		.amdhsa_exception_fp_denorm_src 0
		.amdhsa_exception_fp_ieee_div_zero 0
		.amdhsa_exception_fp_ieee_overflow 0
		.amdhsa_exception_fp_ieee_underflow 0
		.amdhsa_exception_fp_ieee_inexact 0
		.amdhsa_exception_int_div_zero 0
	.end_amdhsa_kernel
	.section	.text._ZN9rocsparseL10bsr_gatherILj64ELj4ELj8Ei21rocsparse_complex_numIfEEEv20rocsparse_direction_T2_PKS4_PKT3_PS7_S4_,"axG",@progbits,_ZN9rocsparseL10bsr_gatherILj64ELj4ELj8Ei21rocsparse_complex_numIfEEEv20rocsparse_direction_T2_PKS4_PKT3_PS7_S4_,comdat
.Lfunc_end48:
	.size	_ZN9rocsparseL10bsr_gatherILj64ELj4ELj8Ei21rocsparse_complex_numIfEEEv20rocsparse_direction_T2_PKS4_PKT3_PS7_S4_, .Lfunc_end48-_ZN9rocsparseL10bsr_gatherILj64ELj4ELj8Ei21rocsparse_complex_numIfEEEv20rocsparse_direction_T2_PKS4_PKT3_PS7_S4_
                                        ; -- End function
	.set _ZN9rocsparseL10bsr_gatherILj64ELj4ELj8Ei21rocsparse_complex_numIfEEEv20rocsparse_direction_T2_PKS4_PKT3_PS7_S4_.num_vgpr, 12
	.set _ZN9rocsparseL10bsr_gatherILj64ELj4ELj8Ei21rocsparse_complex_numIfEEEv20rocsparse_direction_T2_PKS4_PKT3_PS7_S4_.num_agpr, 0
	.set _ZN9rocsparseL10bsr_gatherILj64ELj4ELj8Ei21rocsparse_complex_numIfEEEv20rocsparse_direction_T2_PKS4_PKT3_PS7_S4_.numbered_sgpr, 18
	.set _ZN9rocsparseL10bsr_gatherILj64ELj4ELj8Ei21rocsparse_complex_numIfEEEv20rocsparse_direction_T2_PKS4_PKT3_PS7_S4_.num_named_barrier, 0
	.set _ZN9rocsparseL10bsr_gatherILj64ELj4ELj8Ei21rocsparse_complex_numIfEEEv20rocsparse_direction_T2_PKS4_PKT3_PS7_S4_.private_seg_size, 0
	.set _ZN9rocsparseL10bsr_gatherILj64ELj4ELj8Ei21rocsparse_complex_numIfEEEv20rocsparse_direction_T2_PKS4_PKT3_PS7_S4_.uses_vcc, 1
	.set _ZN9rocsparseL10bsr_gatherILj64ELj4ELj8Ei21rocsparse_complex_numIfEEEv20rocsparse_direction_T2_PKS4_PKT3_PS7_S4_.uses_flat_scratch, 0
	.set _ZN9rocsparseL10bsr_gatherILj64ELj4ELj8Ei21rocsparse_complex_numIfEEEv20rocsparse_direction_T2_PKS4_PKT3_PS7_S4_.has_dyn_sized_stack, 0
	.set _ZN9rocsparseL10bsr_gatherILj64ELj4ELj8Ei21rocsparse_complex_numIfEEEv20rocsparse_direction_T2_PKS4_PKT3_PS7_S4_.has_recursion, 0
	.set _ZN9rocsparseL10bsr_gatherILj64ELj4ELj8Ei21rocsparse_complex_numIfEEEv20rocsparse_direction_T2_PKS4_PKT3_PS7_S4_.has_indirect_call, 0
	.section	.AMDGPU.csdata,"",@progbits
; Kernel info:
; codeLenInByte = 400
; TotalNumSgprs: 22
; NumVgprs: 12
; ScratchSize: 0
; MemoryBound: 0
; FloatMode: 240
; IeeeMode: 1
; LDSByteSize: 0 bytes/workgroup (compile time only)
; SGPRBlocks: 2
; VGPRBlocks: 2
; NumSGPRsForWavesPerEU: 22
; NumVGPRsForWavesPerEU: 12
; Occupancy: 10
; WaveLimiterHint : 0
; COMPUTE_PGM_RSRC2:SCRATCH_EN: 0
; COMPUTE_PGM_RSRC2:USER_SGPR: 6
; COMPUTE_PGM_RSRC2:TRAP_HANDLER: 0
; COMPUTE_PGM_RSRC2:TGID_X_EN: 1
; COMPUTE_PGM_RSRC2:TGID_Y_EN: 0
; COMPUTE_PGM_RSRC2:TGID_Z_EN: 0
; COMPUTE_PGM_RSRC2:TIDIG_COMP_CNT: 1
	.section	.text._ZN9rocsparseL18bsrsv_lower_sharedILj128ELj64ELi8ELb1E21rocsparse_complex_numIfEEEviNS_24const_host_device_scalarIT3_EEPKiS7_PKS4_iS9_PS4_PiSB_SB_21rocsparse_index_base_20rocsparse_diag_type_20rocsparse_direction_b,"axG",@progbits,_ZN9rocsparseL18bsrsv_lower_sharedILj128ELj64ELi8ELb1E21rocsparse_complex_numIfEEEviNS_24const_host_device_scalarIT3_EEPKiS7_PKS4_iS9_PS4_PiSB_SB_21rocsparse_index_base_20rocsparse_diag_type_20rocsparse_direction_b,comdat
	.globl	_ZN9rocsparseL18bsrsv_lower_sharedILj128ELj64ELi8ELb1E21rocsparse_complex_numIfEEEviNS_24const_host_device_scalarIT3_EEPKiS7_PKS4_iS9_PS4_PiSB_SB_21rocsparse_index_base_20rocsparse_diag_type_20rocsparse_direction_b ; -- Begin function _ZN9rocsparseL18bsrsv_lower_sharedILj128ELj64ELi8ELb1E21rocsparse_complex_numIfEEEviNS_24const_host_device_scalarIT3_EEPKiS7_PKS4_iS9_PS4_PiSB_SB_21rocsparse_index_base_20rocsparse_diag_type_20rocsparse_direction_b
	.p2align	8
	.type	_ZN9rocsparseL18bsrsv_lower_sharedILj128ELj64ELi8ELb1E21rocsparse_complex_numIfEEEviNS_24const_host_device_scalarIT3_EEPKiS7_PKS4_iS9_PS4_PiSB_SB_21rocsparse_index_base_20rocsparse_diag_type_20rocsparse_direction_b,@function
_ZN9rocsparseL18bsrsv_lower_sharedILj128ELj64ELi8ELb1E21rocsparse_complex_numIfEEEviNS_24const_host_device_scalarIT3_EEPKiS7_PKS4_iS9_PS4_PiSB_SB_21rocsparse_index_base_20rocsparse_diag_type_20rocsparse_direction_b: ; @_ZN9rocsparseL18bsrsv_lower_sharedILj128ELj64ELi8ELb1E21rocsparse_complex_numIfEEEviNS_24const_host_device_scalarIT3_EEPKiS7_PKS4_iS9_PS4_PiSB_SB_21rocsparse_index_base_20rocsparse_diag_type_20rocsparse_direction_b
; %bb.0:
	s_load_dwordx4 s[8:11], s[4:5], 0x58
	s_load_dwordx2 s[2:3], s[4:5], 0x8
	s_waitcnt lgkmcnt(0)
	s_bitcmp1_b32 s11, 0
	s_cselect_b64 s[12:13], -1, 0
	s_xor_b64 s[0:1], s[12:13], -1
	s_and_b64 vcc, exec, s[12:13]
	s_mov_b32 s11, s2
	s_cbranch_vccnz .LBB49_2
; %bb.1:
	s_load_dword s11, s[2:3], 0x0
.LBB49_2:
	s_andn2_b64 vcc, exec, s[0:1]
	s_cbranch_vccnz .LBB49_4
; %bb.3:
	s_load_dword s3, s[2:3], 0x4
.LBB49_4:
	s_nop 0
	s_load_dword s2, s[4:5], 0x0
	s_lshl_b32 s0, s6, 1
	v_lshrrev_b32_e32 v1, 6, v0
	s_and_b32 s0, s0, 0x3fffffe
	v_or_b32_e32 v1, s0, v1
	s_waitcnt lgkmcnt(0)
	v_cmp_gt_i32_e32 vcc, s2, v1
	s_and_saveexec_b64 s[0:1], vcc
	s_cbranch_execz .LBB49_33
; %bb.5:
	s_load_dwordx2 s[0:1], s[4:5], 0x48
	s_load_dwordx4 s[12:15], s[4:5], 0x38
	v_lshlrev_b32_e32 v1, 2, v1
	v_mov_b32_e32 v9, 0
	v_mov_b32_e32 v10, 0
	s_waitcnt lgkmcnt(0)
	global_load_dword v1, v1, s[0:1]
	s_load_dwordx2 s[0:1], s[4:5], 0x10
	s_load_dword s33, s[4:5], 0x28
	s_waitcnt lgkmcnt(0)
	v_mov_b32_e32 v5, s1
	s_waitcnt vmcnt(0)
	v_ashrrev_i32_e32 v2, 31, v1
	v_lshlrev_b64 v[2:3], 2, v[1:2]
	v_add_co_u32_e32 v4, vcc, s0, v2
	v_addc_co_u32_e32 v5, vcc, v5, v3, vcc
	global_load_dwordx2 v[7:8], v[4:5], off
	v_and_b32_e32 v4, 63, v0
	v_cmp_gt_i32_e64 s[0:1], s33, v4
	s_and_saveexec_b64 s[6:7], s[0:1]
	s_cbranch_execz .LBB49_7
; %bb.6:
	v_mad_u64_u32 v[5:6], s[16:17], v1, s33, v[4:5]
	s_load_dwordx2 s[16:17], s[4:5], 0x30
	v_ashrrev_i32_e32 v6, 31, v5
	v_lshlrev_b64 v[5:6], 3, v[5:6]
	s_waitcnt lgkmcnt(0)
	v_mov_b32_e32 v9, s17
	v_add_co_u32_e32 v5, vcc, s16, v5
	v_addc_co_u32_e32 v6, vcc, v9, v6, vcc
	global_load_dwordx2 v[9:10], v[5:6], off
.LBB49_7:
	s_or_b64 exec, exec, s[6:7]
	s_load_dwordx2 s[20:21], s[4:5], 0x50
	s_waitcnt vmcnt(0)
	v_mul_f32_e64 v5, v10, -s3
	v_mul_f32_e32 v6, s11, v10
	v_fmac_f32_e32 v5, s11, v9
	v_fmac_f32_e32 v6, s3, v9
	v_and_b32_e32 v9, 64, v0
	v_lshlrev_b32_e32 v13, 3, v9
	v_cmp_lt_i32_e32 vcc, v7, v8
	v_mov_b32_e32 v10, s2
	s_and_saveexec_b64 s[22:23], vcc
	s_cbranch_execz .LBB49_30
; %bb.8:
	s_load_dwordx4 s[16:19], s[4:5], 0x18
	v_or_b32_e32 v14, 0x400, v9
	v_and_b32_e32 v0, 7, v0
	v_lshrrev_b32_e32 v9, 3, v4
	v_lshlrev_b32_e32 v10, 3, v4
	v_add_u32_e32 v16, v14, v10
	v_add_u32_e32 v17, v13, v10
	v_max_i32_e32 v10, v0, v9
	v_subrev_u32_e32 v15, s8, v8
	s_cmp_lg_u32 s10, 0
	v_lshl_add_u32 v8, v0, 3, v13
	v_cmp_gt_i32_e64 s[4:5], s33, v10
	v_lshlrev_b32_e32 v10, 6, v9
	v_subrev_u32_e32 v7, s8, v7
	s_cselect_b64 s[10:11], -1, 0
	v_cmp_gt_u32_e64 s[2:3], 8, v4
	s_mov_b64 s[24:25], 0
	s_waitcnt lgkmcnt(0)
	v_mov_b32_e32 v18, s17
	v_add_u32_e32 v19, v8, v10
	s_branch .LBB49_11
.LBB49_9:                               ;   in Loop: Header=BB49_11 Depth=1
	s_or_b64 exec, exec, s[6:7]
.LBB49_10:                              ;   in Loop: Header=BB49_11 Depth=1
	s_or_b64 exec, exec, s[26:27]
	v_add_u32_e32 v7, 1, v7
	v_cmp_ge_i32_e64 s[6:7], v7, v15
	s_xor_b64 s[26:27], vcc, -1
	s_or_b64 s[6:7], s[26:27], s[6:7]
	s_and_b64 s[6:7], exec, s[6:7]
	s_or_b64 s[24:25], s[6:7], s[24:25]
	s_andn2_b64 exec, exec, s[24:25]
	s_cbranch_execz .LBB49_29
.LBB49_11:                              ; =>This Loop Header: Depth=1
                                        ;     Child Loop BB49_20 Depth 2
                                        ;       Child Loop BB49_21 Depth 3
	v_ashrrev_i32_e32 v8, 31, v7
	v_lshlrev_b64 v[10:11], 2, v[7:8]
	v_mov_b32_e32 v12, 0
	v_add_co_u32_e32 v10, vcc, s16, v10
	v_addc_co_u32_e32 v11, vcc, v18, v11, vcc
	global_load_dword v8, v[10:11], off
	v_mov_b32_e32 v11, 0
	s_and_saveexec_b64 s[6:7], s[4:5]
	s_cbranch_execz .LBB49_16
; %bb.12:                               ;   in Loop: Header=BB49_11 Depth=1
	v_mul_lo_u32 v12, v7, s33
	s_and_b64 vcc, exec, s[10:11]
	s_cbranch_vccz .LBB49_28
; %bb.13:                               ;   in Loop: Header=BB49_11 Depth=1
	v_add_u32_e32 v10, v12, v9
	v_mad_u64_u32 v[10:11], s[26:27], v10, s33, v[0:1]
	s_cbranch_execnz .LBB49_15
.LBB49_14:                              ;   in Loop: Header=BB49_11 Depth=1
	v_add_u32_e32 v10, v12, v0
	v_mad_u64_u32 v[10:11], s[26:27], v10, s33, v[9:10]
.LBB49_15:                              ;   in Loop: Header=BB49_11 Depth=1
	v_ashrrev_i32_e32 v11, 31, v10
	v_lshlrev_b64 v[10:11], 3, v[10:11]
	v_mov_b32_e32 v12, s19
	v_add_co_u32_e32 v10, vcc, s18, v10
	v_addc_co_u32_e32 v11, vcc, v12, v11, vcc
	global_load_dwordx2 v[11:12], v[10:11], off
.LBB49_16:                              ;   in Loop: Header=BB49_11 Depth=1
	s_or_b64 exec, exec, s[6:7]
	s_waitcnt vmcnt(0)
	v_subrev_u32_e32 v10, s8, v8
	v_cmp_lt_i32_e32 vcc, v10, v1
	ds_write_b64 v19, v[11:12]
	s_and_saveexec_b64 s[26:27], vcc
	s_cbranch_execz .LBB49_10
; %bb.17:                               ;   in Loop: Header=BB49_11 Depth=1
	v_ashrrev_i32_e32 v11, 31, v10
	v_lshlrev_b64 v[11:12], 2, v[10:11]
	v_mov_b32_e32 v8, s15
	v_add_co_u32_e64 v11, s[6:7], s14, v11
	v_addc_co_u32_e64 v12, s[6:7], v8, v12, s[6:7]
	global_load_dword v8, v[11:12], off glc
	s_waitcnt vmcnt(0)
	v_cmp_eq_u32_e64 s[6:7], 0, v8
	s_and_saveexec_b64 s[28:29], s[6:7]
	s_cbranch_execz .LBB49_22
; %bb.18:                               ;   in Loop: Header=BB49_11 Depth=1
	s_mov_b32 s17, 0
	s_mov_b64 s[30:31], 0
	s_branch .LBB49_20
.LBB49_19:                              ;   in Loop: Header=BB49_20 Depth=2
	global_load_dword v8, v[11:12], off glc
	s_cmpk_lt_u32 s17, 0xf43
	s_cselect_b64 s[6:7], -1, 0
	s_cmp_lg_u64 s[6:7], 0
	s_addc_u32 s17, s17, 0
	s_waitcnt vmcnt(0)
	v_cmp_ne_u32_e64 s[6:7], 0, v8
	s_or_b64 s[30:31], s[6:7], s[30:31]
	s_andn2_b64 exec, exec, s[30:31]
	s_cbranch_execz .LBB49_22
.LBB49_20:                              ;   Parent Loop BB49_11 Depth=1
                                        ; =>  This Loop Header: Depth=2
                                        ;       Child Loop BB49_21 Depth 3
	s_cmp_eq_u32 s17, 0
	s_mov_b32 s6, s17
	s_cbranch_scc1 .LBB49_19
.LBB49_21:                              ;   Parent Loop BB49_11 Depth=1
                                        ;     Parent Loop BB49_20 Depth=2
                                        ; =>    This Inner Loop Header: Depth=3
	s_add_i32 s6, s6, -1
	s_cmp_eq_u32 s6, 0
	s_sleep 1
	s_cbranch_scc0 .LBB49_21
	s_branch .LBB49_19
.LBB49_22:                              ;   in Loop: Header=BB49_11 Depth=1
	s_or_b64 exec, exec, s[28:29]
	s_waitcnt lgkmcnt(0)
	buffer_wbinvl1_vol
	s_and_saveexec_b64 s[28:29], s[2:3]
	s_cbranch_execz .LBB49_26
; %bb.23:                               ;   in Loop: Header=BB49_11 Depth=1
	v_mov_b32_e32 v12, 0
	v_mov_b32_e32 v11, 0
	s_and_saveexec_b64 s[30:31], s[0:1]
	s_cbranch_execz .LBB49_25
; %bb.24:                               ;   in Loop: Header=BB49_11 Depth=1
	v_mad_u64_u32 v[11:12], s[6:7], v10, s33, v[4:5]
	v_mov_b32_e32 v8, s13
	v_ashrrev_i32_e32 v12, 31, v11
	v_lshlrev_b64 v[11:12], 3, v[11:12]
	v_add_co_u32_e64 v11, s[6:7], s12, v11
	v_addc_co_u32_e64 v12, s[6:7], v8, v12, s[6:7]
	global_load_dwordx2 v[11:12], v[11:12], off
.LBB49_25:                              ;   in Loop: Header=BB49_11 Depth=1
	s_or_b64 exec, exec, s[30:31]
	s_waitcnt vmcnt(0)
	ds_write_b64 v16, v[11:12]
.LBB49_26:                              ;   in Loop: Header=BB49_11 Depth=1
	s_or_b64 exec, exec, s[28:29]
	s_waitcnt lgkmcnt(0)
	s_and_saveexec_b64 s[6:7], s[0:1]
	s_cbranch_execz .LBB49_9
; %bb.27:                               ;   in Loop: Header=BB49_11 Depth=1
	ds_read2_b64 v[20:23], v17 offset1:8
	ds_read_b128 v[24:27], v14
	ds_read_b128 v[28:31], v14 offset:16
	ds_read2_b64 v[32:35], v17 offset0:16 offset1:24
	s_waitcnt lgkmcnt(2)
	v_fma_f32 v5, -v20, v24, v5
	v_fma_f32 v6, -v21, v24, v6
	v_fmac_f32_e32 v5, v21, v25
	v_fma_f32 v6, -v20, v25, v6
	v_fma_f32 v5, -v22, v26, v5
	v_fma_f32 v6, -v23, v26, v6
	v_fmac_f32_e32 v5, v23, v27
	v_fma_f32 v6, -v22, v27, v6
	ds_read_b128 v[20:23], v14 offset:32
	ds_read2_b64 v[24:27], v17 offset0:32 offset1:40
	s_waitcnt lgkmcnt(2)
	v_fma_f32 v5, -v32, v28, v5
	v_fma_f32 v6, -v33, v28, v6
	v_fmac_f32_e32 v5, v33, v29
	v_fma_f32 v6, -v32, v29, v6
	v_fma_f32 v5, -v34, v30, v5
	v_fma_f32 v6, -v35, v30, v6
	v_fmac_f32_e32 v5, v35, v31
	v_fma_f32 v6, -v34, v31, v6
	;; [unrolled: 11-line block ×3, first 2 shown]
	s_waitcnt lgkmcnt(0)
	v_fma_f32 v5, -v32, v28, v5
	v_fma_f32 v6, -v33, v28, v6
	v_fmac_f32_e32 v5, v33, v29
	v_fma_f32 v6, -v32, v29, v6
	v_fma_f32 v5, -v34, v30, v5
	;; [unrolled: 1-line block ×3, first 2 shown]
	v_fmac_f32_e32 v5, v35, v31
	v_fma_f32 v6, -v34, v31, v6
	s_branch .LBB49_9
.LBB49_28:                              ;   in Loop: Header=BB49_11 Depth=1
                                        ; implicit-def: $vgpr10
	s_branch .LBB49_14
.LBB49_29:
	s_or_b64 exec, exec, s[24:25]
.LBB49_30:
	s_or_b64 exec, exec, s[22:23]
	s_cmp_gt_i32 s33, 0
	v_cmp_eq_u32_e32 vcc, v10, v1
	s_cselect_b64 s[2:3], -1, 0
	s_mov_b32 s18, 0
	s_and_b64 s[4:5], s[2:3], vcc
	s_mov_b64 s[2:3], 0
	s_and_saveexec_b64 s[6:7], s[4:5]
	s_cbranch_execnz .LBB49_34
; %bb.31:
	s_or_b64 exec, exec, s[6:7]
	s_and_saveexec_b64 s[4:5], s[0:1]
	s_cbranch_execnz .LBB49_48
.LBB49_32:
	s_or_b64 exec, exec, s[4:5]
	v_cmp_eq_u32_e32 vcc, 0, v4
	s_and_b64 exec, exec, vcc
	s_cbranch_execnz .LBB49_49
.LBB49_33:
	s_endpgm
.LBB49_34:
	s_cmp_eq_u32 s9, 0
	v_mbcnt_lo_u32_b32 v0, -1, 0
	s_cselect_b64 s[2:3], -1, 0
	v_mbcnt_hi_u32_b32 v0, -1, v0
	v_cndmask_b32_e64 v7, 0, 1, s[2:3]
	v_and_b32_e32 v0, 64, v0
	v_lshl_add_u32 v9, v4, 3, v13
	s_mov_b64 s[16:17], 0
	v_cmp_ne_u32_e64 s[2:3], 1, v7
                                        ; implicit-def: $sgpr10_sgpr11
	s_and_b64 vcc, exec, s[2:3]
	s_cbranch_vccz .LBB49_36
.LBB49_35:
	v_mov_b32_e32 v7, 1.0
	v_mov_b32_e32 v8, 0
	s_branch .LBB49_37
.LBB49_36:
	ds_read_b64 v[7:8], v13
.LBB49_37:
	v_and_or_b32 v10, s18, 63, v0
	v_lshlrev_b32_e32 v10, 2, v10
	ds_bpermute_b32 v11, v10, v5
	ds_bpermute_b32 v10, v10, v6
	s_waitcnt lgkmcnt(0)
	v_cmp_neq_f32_e32 vcc, 0, v7
	v_cmp_neq_f32_e64 s[4:5], 0, v8
	s_or_b64 s[22:23], vcc, s[4:5]
	s_or_b64 s[10:11], s[10:11], exec
	s_and_saveexec_b64 s[4:5], s[22:23]
	s_cbranch_execz .LBB49_39
; %bb.38:
	v_mul_f32_e32 v12, v8, v8
	v_fmac_f32_e32 v12, v7, v7
	v_div_scale_f32 v14, s[22:23], v12, v12, 1.0
	v_div_scale_f32 v15, vcc, 1.0, v12, 1.0
	s_andn2_b64 s[10:11], s[10:11], exec
	s_and_b64 s[16:17], s[16:17], exec
	s_or_b64 s[10:11], s[10:11], s[16:17]
	v_rcp_f32_e32 v16, v14
	v_fma_f32 v17, -v14, v16, 1.0
	v_fmac_f32_e32 v16, v17, v16
	v_mul_f32_e32 v17, v15, v16
	v_fma_f32 v18, -v14, v17, v15
	v_fmac_f32_e32 v17, v18, v16
	v_fma_f32 v14, -v14, v17, v15
	v_div_fmas_f32 v14, v14, v16, v17
	v_mul_f32_e32 v15, v8, v10
	v_mul_f32_e64 v8, v8, -v11
	v_fmac_f32_e32 v15, v11, v7
	v_fmac_f32_e32 v8, v10, v7
	v_div_fixup_f32 v7, v14, v12, 1.0
	v_mul_f32_e32 v11, v7, v15
	v_mul_f32_e32 v10, v7, v8
.LBB49_39:
	s_or_b64 exec, exec, s[4:5]
	s_and_saveexec_b64 s[4:5], s[0:1]
	s_cbranch_execz .LBB49_45
; %bb.40:
	v_cmp_ge_u32_e32 vcc, s18, v4
	s_and_saveexec_b64 s[16:17], vcc
	s_xor_b64 s[16:17], exec, s[16:17]
; %bb.41:
	v_cmp_eq_u32_e32 vcc, s18, v4
	v_cndmask_b32_e32 v5, v5, v11, vcc
	v_cndmask_b32_e32 v6, v6, v10, vcc
                                        ; implicit-def: $vgpr11
                                        ; implicit-def: $vgpr10
; %bb.42:
	s_andn2_saveexec_b64 s[16:17], s[16:17]
	s_cbranch_execz .LBB49_44
; %bb.43:
	ds_read_b64 v[7:8], v9
	s_waitcnt lgkmcnt(0)
	v_fma_f32 v5, -v11, v7, v5
	v_fma_f32 v6, -v10, v7, v6
	v_fmac_f32_e32 v5, v10, v8
	v_fma_f32 v6, -v11, v8, v6
.LBB49_44:
	s_or_b64 exec, exec, s[16:17]
.LBB49_45:
	s_or_b64 exec, exec, s[4:5]
	s_add_i32 s18, s18, 1
	v_add_u32_e32 v9, 64, v9
	s_cmp_lg_u32 s33, s18
	v_add_u32_e32 v13, 0x48, v13
	s_cbranch_scc0 .LBB49_47
; %bb.46:
	s_mov_b64 s[16:17], s[10:11]
	s_and_b64 vcc, exec, s[2:3]
	s_cbranch_vccnz .LBB49_35
	s_branch .LBB49_36
.LBB49_47:
	s_and_b64 s[2:3], s[10:11], exec
	s_or_b64 exec, exec, s[6:7]
	s_and_saveexec_b64 s[4:5], s[0:1]
	s_cbranch_execz .LBB49_32
.LBB49_48:
	v_mad_u64_u32 v[7:8], s[0:1], v1, s33, v[4:5]
	v_mov_b32_e32 v0, s13
	v_ashrrev_i32_e32 v8, 31, v7
	v_lshlrev_b64 v[7:8], 3, v[7:8]
	v_add_co_u32_e32 v7, vcc, s12, v7
	v_addc_co_u32_e32 v8, vcc, v0, v8, vcc
	global_store_dwordx2 v[7:8], v[5:6], off
	s_or_b64 exec, exec, s[4:5]
	v_cmp_eq_u32_e32 vcc, 0, v4
	s_and_b64 exec, exec, vcc
	s_cbranch_execz .LBB49_33
.LBB49_49:
	v_mov_b32_e32 v0, s15
	v_add_co_u32_e32 v2, vcc, s14, v2
	v_addc_co_u32_e32 v3, vcc, v0, v3, vcc
	v_mov_b32_e32 v0, 1
	s_waitcnt vmcnt(0) lgkmcnt(0)
	global_store_dword v[2:3], v0, off
	s_and_b64 exec, exec, s[2:3]
	s_cbranch_execz .LBB49_33
; %bb.50:
	s_mov_b64 s[0:1], exec
	v_add_u32_e32 v0, s8, v1
	s_brev_b32 s2, -2
.LBB49_51:                              ; =>This Inner Loop Header: Depth=1
	s_ff1_i32_b64 s3, s[0:1]
	v_readlane_b32 s6, v0, s3
	s_lshl_b64 s[4:5], 1, s3
	s_min_i32 s2, s2, s6
	s_andn2_b64 s[0:1], s[0:1], s[4:5]
	s_cmp_lg_u64 s[0:1], 0
	s_cbranch_scc1 .LBB49_51
; %bb.52:
	v_mbcnt_lo_u32_b32 v0, exec_lo, 0
	v_mbcnt_hi_u32_b32 v0, exec_hi, v0
	v_cmp_eq_u32_e32 vcc, 0, v0
	s_and_saveexec_b64 s[0:1], vcc
	s_xor_b64 s[0:1], exec, s[0:1]
	s_cbranch_execz .LBB49_33
; %bb.53:
	v_mov_b32_e32 v0, 0
	v_mov_b32_e32 v1, s2
	global_atomic_smin v0, v1, s[20:21]
	s_endpgm
	.section	.rodata,"a",@progbits
	.p2align	6, 0x0
	.amdhsa_kernel _ZN9rocsparseL18bsrsv_lower_sharedILj128ELj64ELi8ELb1E21rocsparse_complex_numIfEEEviNS_24const_host_device_scalarIT3_EEPKiS7_PKS4_iS9_PS4_PiSB_SB_21rocsparse_index_base_20rocsparse_diag_type_20rocsparse_direction_b
		.amdhsa_group_segment_fixed_size 1152
		.amdhsa_private_segment_fixed_size 0
		.amdhsa_kernarg_size 104
		.amdhsa_user_sgpr_count 6
		.amdhsa_user_sgpr_private_segment_buffer 1
		.amdhsa_user_sgpr_dispatch_ptr 0
		.amdhsa_user_sgpr_queue_ptr 0
		.amdhsa_user_sgpr_kernarg_segment_ptr 1
		.amdhsa_user_sgpr_dispatch_id 0
		.amdhsa_user_sgpr_flat_scratch_init 0
		.amdhsa_user_sgpr_private_segment_size 0
		.amdhsa_uses_dynamic_stack 0
		.amdhsa_system_sgpr_private_segment_wavefront_offset 0
		.amdhsa_system_sgpr_workgroup_id_x 1
		.amdhsa_system_sgpr_workgroup_id_y 0
		.amdhsa_system_sgpr_workgroup_id_z 0
		.amdhsa_system_sgpr_workgroup_info 0
		.amdhsa_system_vgpr_workitem_id 0
		.amdhsa_next_free_vgpr 36
		.amdhsa_next_free_sgpr 34
		.amdhsa_reserve_vcc 1
		.amdhsa_reserve_flat_scratch 0
		.amdhsa_float_round_mode_32 0
		.amdhsa_float_round_mode_16_64 0
		.amdhsa_float_denorm_mode_32 3
		.amdhsa_float_denorm_mode_16_64 3
		.amdhsa_dx10_clamp 1
		.amdhsa_ieee_mode 1
		.amdhsa_fp16_overflow 0
		.amdhsa_exception_fp_ieee_invalid_op 0
		.amdhsa_exception_fp_denorm_src 0
		.amdhsa_exception_fp_ieee_div_zero 0
		.amdhsa_exception_fp_ieee_overflow 0
		.amdhsa_exception_fp_ieee_underflow 0
		.amdhsa_exception_fp_ieee_inexact 0
		.amdhsa_exception_int_div_zero 0
	.end_amdhsa_kernel
	.section	.text._ZN9rocsparseL18bsrsv_lower_sharedILj128ELj64ELi8ELb1E21rocsparse_complex_numIfEEEviNS_24const_host_device_scalarIT3_EEPKiS7_PKS4_iS9_PS4_PiSB_SB_21rocsparse_index_base_20rocsparse_diag_type_20rocsparse_direction_b,"axG",@progbits,_ZN9rocsparseL18bsrsv_lower_sharedILj128ELj64ELi8ELb1E21rocsparse_complex_numIfEEEviNS_24const_host_device_scalarIT3_EEPKiS7_PKS4_iS9_PS4_PiSB_SB_21rocsparse_index_base_20rocsparse_diag_type_20rocsparse_direction_b,comdat
.Lfunc_end49:
	.size	_ZN9rocsparseL18bsrsv_lower_sharedILj128ELj64ELi8ELb1E21rocsparse_complex_numIfEEEviNS_24const_host_device_scalarIT3_EEPKiS7_PKS4_iS9_PS4_PiSB_SB_21rocsparse_index_base_20rocsparse_diag_type_20rocsparse_direction_b, .Lfunc_end49-_ZN9rocsparseL18bsrsv_lower_sharedILj128ELj64ELi8ELb1E21rocsparse_complex_numIfEEEviNS_24const_host_device_scalarIT3_EEPKiS7_PKS4_iS9_PS4_PiSB_SB_21rocsparse_index_base_20rocsparse_diag_type_20rocsparse_direction_b
                                        ; -- End function
	.set _ZN9rocsparseL18bsrsv_lower_sharedILj128ELj64ELi8ELb1E21rocsparse_complex_numIfEEEviNS_24const_host_device_scalarIT3_EEPKiS7_PKS4_iS9_PS4_PiSB_SB_21rocsparse_index_base_20rocsparse_diag_type_20rocsparse_direction_b.num_vgpr, 36
	.set _ZN9rocsparseL18bsrsv_lower_sharedILj128ELj64ELi8ELb1E21rocsparse_complex_numIfEEEviNS_24const_host_device_scalarIT3_EEPKiS7_PKS4_iS9_PS4_PiSB_SB_21rocsparse_index_base_20rocsparse_diag_type_20rocsparse_direction_b.num_agpr, 0
	.set _ZN9rocsparseL18bsrsv_lower_sharedILj128ELj64ELi8ELb1E21rocsparse_complex_numIfEEEviNS_24const_host_device_scalarIT3_EEPKiS7_PKS4_iS9_PS4_PiSB_SB_21rocsparse_index_base_20rocsparse_diag_type_20rocsparse_direction_b.numbered_sgpr, 34
	.set _ZN9rocsparseL18bsrsv_lower_sharedILj128ELj64ELi8ELb1E21rocsparse_complex_numIfEEEviNS_24const_host_device_scalarIT3_EEPKiS7_PKS4_iS9_PS4_PiSB_SB_21rocsparse_index_base_20rocsparse_diag_type_20rocsparse_direction_b.num_named_barrier, 0
	.set _ZN9rocsparseL18bsrsv_lower_sharedILj128ELj64ELi8ELb1E21rocsparse_complex_numIfEEEviNS_24const_host_device_scalarIT3_EEPKiS7_PKS4_iS9_PS4_PiSB_SB_21rocsparse_index_base_20rocsparse_diag_type_20rocsparse_direction_b.private_seg_size, 0
	.set _ZN9rocsparseL18bsrsv_lower_sharedILj128ELj64ELi8ELb1E21rocsparse_complex_numIfEEEviNS_24const_host_device_scalarIT3_EEPKiS7_PKS4_iS9_PS4_PiSB_SB_21rocsparse_index_base_20rocsparse_diag_type_20rocsparse_direction_b.uses_vcc, 1
	.set _ZN9rocsparseL18bsrsv_lower_sharedILj128ELj64ELi8ELb1E21rocsparse_complex_numIfEEEviNS_24const_host_device_scalarIT3_EEPKiS7_PKS4_iS9_PS4_PiSB_SB_21rocsparse_index_base_20rocsparse_diag_type_20rocsparse_direction_b.uses_flat_scratch, 0
	.set _ZN9rocsparseL18bsrsv_lower_sharedILj128ELj64ELi8ELb1E21rocsparse_complex_numIfEEEviNS_24const_host_device_scalarIT3_EEPKiS7_PKS4_iS9_PS4_PiSB_SB_21rocsparse_index_base_20rocsparse_diag_type_20rocsparse_direction_b.has_dyn_sized_stack, 0
	.set _ZN9rocsparseL18bsrsv_lower_sharedILj128ELj64ELi8ELb1E21rocsparse_complex_numIfEEEviNS_24const_host_device_scalarIT3_EEPKiS7_PKS4_iS9_PS4_PiSB_SB_21rocsparse_index_base_20rocsparse_diag_type_20rocsparse_direction_b.has_recursion, 0
	.set _ZN9rocsparseL18bsrsv_lower_sharedILj128ELj64ELi8ELb1E21rocsparse_complex_numIfEEEviNS_24const_host_device_scalarIT3_EEPKiS7_PKS4_iS9_PS4_PiSB_SB_21rocsparse_index_base_20rocsparse_diag_type_20rocsparse_direction_b.has_indirect_call, 0
	.section	.AMDGPU.csdata,"",@progbits
; Kernel info:
; codeLenInByte = 1900
; TotalNumSgprs: 38
; NumVgprs: 36
; ScratchSize: 0
; MemoryBound: 0
; FloatMode: 240
; IeeeMode: 1
; LDSByteSize: 1152 bytes/workgroup (compile time only)
; SGPRBlocks: 4
; VGPRBlocks: 8
; NumSGPRsForWavesPerEU: 38
; NumVGPRsForWavesPerEU: 36
; Occupancy: 7
; WaveLimiterHint : 1
; COMPUTE_PGM_RSRC2:SCRATCH_EN: 0
; COMPUTE_PGM_RSRC2:USER_SGPR: 6
; COMPUTE_PGM_RSRC2:TRAP_HANDLER: 0
; COMPUTE_PGM_RSRC2:TGID_X_EN: 1
; COMPUTE_PGM_RSRC2:TGID_Y_EN: 0
; COMPUTE_PGM_RSRC2:TGID_Z_EN: 0
; COMPUTE_PGM_RSRC2:TIDIG_COMP_CNT: 0
	.section	.text._ZN9rocsparseL18bsrsv_lower_sharedILj128ELj64ELi8ELb0E21rocsparse_complex_numIfEEEviNS_24const_host_device_scalarIT3_EEPKiS7_PKS4_iS9_PS4_PiSB_SB_21rocsparse_index_base_20rocsparse_diag_type_20rocsparse_direction_b,"axG",@progbits,_ZN9rocsparseL18bsrsv_lower_sharedILj128ELj64ELi8ELb0E21rocsparse_complex_numIfEEEviNS_24const_host_device_scalarIT3_EEPKiS7_PKS4_iS9_PS4_PiSB_SB_21rocsparse_index_base_20rocsparse_diag_type_20rocsparse_direction_b,comdat
	.globl	_ZN9rocsparseL18bsrsv_lower_sharedILj128ELj64ELi8ELb0E21rocsparse_complex_numIfEEEviNS_24const_host_device_scalarIT3_EEPKiS7_PKS4_iS9_PS4_PiSB_SB_21rocsparse_index_base_20rocsparse_diag_type_20rocsparse_direction_b ; -- Begin function _ZN9rocsparseL18bsrsv_lower_sharedILj128ELj64ELi8ELb0E21rocsparse_complex_numIfEEEviNS_24const_host_device_scalarIT3_EEPKiS7_PKS4_iS9_PS4_PiSB_SB_21rocsparse_index_base_20rocsparse_diag_type_20rocsparse_direction_b
	.p2align	8
	.type	_ZN9rocsparseL18bsrsv_lower_sharedILj128ELj64ELi8ELb0E21rocsparse_complex_numIfEEEviNS_24const_host_device_scalarIT3_EEPKiS7_PKS4_iS9_PS4_PiSB_SB_21rocsparse_index_base_20rocsparse_diag_type_20rocsparse_direction_b,@function
_ZN9rocsparseL18bsrsv_lower_sharedILj128ELj64ELi8ELb0E21rocsparse_complex_numIfEEEviNS_24const_host_device_scalarIT3_EEPKiS7_PKS4_iS9_PS4_PiSB_SB_21rocsparse_index_base_20rocsparse_diag_type_20rocsparse_direction_b: ; @_ZN9rocsparseL18bsrsv_lower_sharedILj128ELj64ELi8ELb0E21rocsparse_complex_numIfEEEviNS_24const_host_device_scalarIT3_EEPKiS7_PKS4_iS9_PS4_PiSB_SB_21rocsparse_index_base_20rocsparse_diag_type_20rocsparse_direction_b
; %bb.0:
	s_load_dwordx4 s[8:11], s[4:5], 0x58
	s_load_dwordx2 s[2:3], s[4:5], 0x8
	s_waitcnt lgkmcnt(0)
	s_bitcmp1_b32 s11, 0
	s_cselect_b64 s[12:13], -1, 0
	s_xor_b64 s[0:1], s[12:13], -1
	s_and_b64 vcc, exec, s[12:13]
	s_mov_b32 s11, s2
	s_cbranch_vccnz .LBB50_2
; %bb.1:
	s_load_dword s11, s[2:3], 0x0
.LBB50_2:
	s_andn2_b64 vcc, exec, s[0:1]
	s_cbranch_vccnz .LBB50_4
; %bb.3:
	s_load_dword s3, s[2:3], 0x4
.LBB50_4:
	s_nop 0
	s_load_dword s2, s[4:5], 0x0
	s_lshl_b32 s0, s6, 1
	v_lshrrev_b32_e32 v1, 6, v0
	s_and_b32 s0, s0, 0x3fffffe
	v_or_b32_e32 v1, s0, v1
	s_waitcnt lgkmcnt(0)
	v_cmp_gt_i32_e32 vcc, s2, v1
	s_and_saveexec_b64 s[0:1], vcc
	s_cbranch_execz .LBB50_31
; %bb.5:
	s_load_dwordx2 s[0:1], s[4:5], 0x48
	s_load_dwordx4 s[12:15], s[4:5], 0x38
	v_lshlrev_b32_e32 v1, 2, v1
	v_mov_b32_e32 v9, 0
	v_mov_b32_e32 v10, 0
	s_waitcnt lgkmcnt(0)
	global_load_dword v1, v1, s[0:1]
	s_load_dwordx2 s[0:1], s[4:5], 0x10
	s_load_dword s33, s[4:5], 0x28
	s_waitcnt lgkmcnt(0)
	v_mov_b32_e32 v5, s1
	s_waitcnt vmcnt(0)
	v_ashrrev_i32_e32 v2, 31, v1
	v_lshlrev_b64 v[2:3], 2, v[1:2]
	v_add_co_u32_e32 v4, vcc, s0, v2
	v_addc_co_u32_e32 v5, vcc, v5, v3, vcc
	global_load_dwordx2 v[7:8], v[4:5], off
	v_and_b32_e32 v4, 63, v0
	v_cmp_gt_i32_e64 s[0:1], s33, v4
	s_and_saveexec_b64 s[6:7], s[0:1]
	s_cbranch_execz .LBB50_7
; %bb.6:
	v_mad_u64_u32 v[5:6], s[16:17], v1, s33, v[4:5]
	s_load_dwordx2 s[16:17], s[4:5], 0x30
	v_ashrrev_i32_e32 v6, 31, v5
	v_lshlrev_b64 v[5:6], 3, v[5:6]
	s_waitcnt lgkmcnt(0)
	v_mov_b32_e32 v9, s17
	v_add_co_u32_e32 v5, vcc, s16, v5
	v_addc_co_u32_e32 v6, vcc, v9, v6, vcc
	global_load_dwordx2 v[9:10], v[5:6], off
.LBB50_7:
	s_or_b64 exec, exec, s[6:7]
	s_load_dwordx2 s[20:21], s[4:5], 0x50
	s_waitcnt vmcnt(0)
	v_mul_f32_e64 v5, v10, -s3
	v_mul_f32_e32 v6, s11, v10
	v_fmac_f32_e32 v5, s11, v9
	v_fmac_f32_e32 v6, s3, v9
	v_and_b32_e32 v9, 64, v0
	v_lshlrev_b32_e32 v13, 3, v9
	v_cmp_lt_i32_e32 vcc, v7, v8
	v_mov_b32_e32 v10, s2
	s_and_saveexec_b64 s[22:23], vcc
	s_cbranch_execz .LBB50_28
; %bb.8:
	s_load_dwordx4 s[16:19], s[4:5], 0x18
	v_or_b32_e32 v14, 0x400, v9
	v_and_b32_e32 v0, 7, v0
	v_lshrrev_b32_e32 v9, 3, v4
	v_lshlrev_b32_e32 v10, 3, v4
	v_add_u32_e32 v16, v14, v10
	v_add_u32_e32 v17, v13, v10
	v_max_i32_e32 v10, v0, v9
	v_subrev_u32_e32 v15, s8, v8
	s_cmp_lg_u32 s10, 0
	v_lshl_add_u32 v8, v0, 3, v13
	v_cmp_gt_i32_e64 s[4:5], s33, v10
	v_lshlrev_b32_e32 v10, 6, v9
	v_subrev_u32_e32 v7, s8, v7
	s_cselect_b64 s[10:11], -1, 0
	v_cmp_gt_u32_e64 s[2:3], 8, v4
	s_mov_b64 s[24:25], 0
	s_waitcnt lgkmcnt(0)
	v_mov_b32_e32 v18, s17
	v_add_u32_e32 v19, v8, v10
	s_branch .LBB50_11
.LBB50_9:                               ;   in Loop: Header=BB50_11 Depth=1
	s_or_b64 exec, exec, s[6:7]
.LBB50_10:                              ;   in Loop: Header=BB50_11 Depth=1
	s_or_b64 exec, exec, s[26:27]
	v_add_u32_e32 v7, 1, v7
	v_cmp_ge_i32_e64 s[6:7], v7, v15
	s_xor_b64 s[26:27], vcc, -1
	s_or_b64 s[6:7], s[26:27], s[6:7]
	s_and_b64 s[6:7], exec, s[6:7]
	s_or_b64 s[24:25], s[6:7], s[24:25]
	s_andn2_b64 exec, exec, s[24:25]
	s_cbranch_execz .LBB50_27
.LBB50_11:                              ; =>This Loop Header: Depth=1
                                        ;     Child Loop BB50_19 Depth 2
	v_ashrrev_i32_e32 v8, 31, v7
	v_lshlrev_b64 v[10:11], 2, v[7:8]
	v_mov_b32_e32 v12, 0
	v_add_co_u32_e32 v10, vcc, s16, v10
	v_addc_co_u32_e32 v11, vcc, v18, v11, vcc
	global_load_dword v8, v[10:11], off
	v_mov_b32_e32 v11, 0
	s_and_saveexec_b64 s[6:7], s[4:5]
	s_cbranch_execz .LBB50_16
; %bb.12:                               ;   in Loop: Header=BB50_11 Depth=1
	v_mul_lo_u32 v12, v7, s33
	s_and_b64 vcc, exec, s[10:11]
	s_cbranch_vccz .LBB50_26
; %bb.13:                               ;   in Loop: Header=BB50_11 Depth=1
	v_add_u32_e32 v10, v12, v9
	v_mad_u64_u32 v[10:11], s[26:27], v10, s33, v[0:1]
	s_cbranch_execnz .LBB50_15
.LBB50_14:                              ;   in Loop: Header=BB50_11 Depth=1
	v_add_u32_e32 v10, v12, v0
	v_mad_u64_u32 v[10:11], s[26:27], v10, s33, v[9:10]
.LBB50_15:                              ;   in Loop: Header=BB50_11 Depth=1
	v_ashrrev_i32_e32 v11, 31, v10
	v_lshlrev_b64 v[10:11], 3, v[10:11]
	v_mov_b32_e32 v12, s19
	v_add_co_u32_e32 v10, vcc, s18, v10
	v_addc_co_u32_e32 v11, vcc, v12, v11, vcc
	global_load_dwordx2 v[11:12], v[10:11], off
.LBB50_16:                              ;   in Loop: Header=BB50_11 Depth=1
	s_or_b64 exec, exec, s[6:7]
	s_waitcnt vmcnt(0)
	v_subrev_u32_e32 v10, s8, v8
	v_cmp_lt_i32_e32 vcc, v10, v1
	ds_write_b64 v19, v[11:12]
	s_and_saveexec_b64 s[26:27], vcc
	s_cbranch_execz .LBB50_10
; %bb.17:                               ;   in Loop: Header=BB50_11 Depth=1
	v_ashrrev_i32_e32 v11, 31, v10
	v_lshlrev_b64 v[11:12], 2, v[10:11]
	v_mov_b32_e32 v8, s15
	v_add_co_u32_e64 v11, s[6:7], s14, v11
	v_addc_co_u32_e64 v12, s[6:7], v8, v12, s[6:7]
	global_load_dword v8, v[11:12], off glc
	s_waitcnt vmcnt(0)
	v_cmp_eq_u32_e64 s[6:7], 0, v8
	s_and_saveexec_b64 s[28:29], s[6:7]
	s_cbranch_execz .LBB50_20
; %bb.18:                               ;   in Loop: Header=BB50_11 Depth=1
	s_mov_b64 s[30:31], 0
.LBB50_19:                              ;   Parent Loop BB50_11 Depth=1
                                        ; =>  This Inner Loop Header: Depth=2
	global_load_dword v8, v[11:12], off glc
	s_waitcnt vmcnt(0)
	v_cmp_ne_u32_e64 s[6:7], 0, v8
	s_or_b64 s[30:31], s[6:7], s[30:31]
	s_andn2_b64 exec, exec, s[30:31]
	s_cbranch_execnz .LBB50_19
.LBB50_20:                              ;   in Loop: Header=BB50_11 Depth=1
	s_or_b64 exec, exec, s[28:29]
	s_waitcnt lgkmcnt(0)
	buffer_wbinvl1_vol
	s_and_saveexec_b64 s[28:29], s[2:3]
	s_cbranch_execz .LBB50_24
; %bb.21:                               ;   in Loop: Header=BB50_11 Depth=1
	v_mov_b32_e32 v12, 0
	v_mov_b32_e32 v11, 0
	s_and_saveexec_b64 s[30:31], s[0:1]
	s_cbranch_execz .LBB50_23
; %bb.22:                               ;   in Loop: Header=BB50_11 Depth=1
	v_mad_u64_u32 v[11:12], s[6:7], v10, s33, v[4:5]
	v_mov_b32_e32 v8, s13
	v_ashrrev_i32_e32 v12, 31, v11
	v_lshlrev_b64 v[11:12], 3, v[11:12]
	v_add_co_u32_e64 v11, s[6:7], s12, v11
	v_addc_co_u32_e64 v12, s[6:7], v8, v12, s[6:7]
	global_load_dwordx2 v[11:12], v[11:12], off
.LBB50_23:                              ;   in Loop: Header=BB50_11 Depth=1
	s_or_b64 exec, exec, s[30:31]
	s_waitcnt vmcnt(0)
	ds_write_b64 v16, v[11:12]
.LBB50_24:                              ;   in Loop: Header=BB50_11 Depth=1
	s_or_b64 exec, exec, s[28:29]
	s_waitcnt lgkmcnt(0)
	s_and_saveexec_b64 s[6:7], s[0:1]
	s_cbranch_execz .LBB50_9
; %bb.25:                               ;   in Loop: Header=BB50_11 Depth=1
	ds_read2_b64 v[20:23], v17 offset1:8
	ds_read_b128 v[24:27], v14
	ds_read_b128 v[28:31], v14 offset:16
	ds_read2_b64 v[32:35], v17 offset0:16 offset1:24
	s_waitcnt lgkmcnt(2)
	v_fma_f32 v5, -v20, v24, v5
	v_fma_f32 v6, -v21, v24, v6
	v_fmac_f32_e32 v5, v21, v25
	v_fma_f32 v6, -v20, v25, v6
	v_fma_f32 v5, -v22, v26, v5
	v_fma_f32 v6, -v23, v26, v6
	v_fmac_f32_e32 v5, v23, v27
	v_fma_f32 v6, -v22, v27, v6
	ds_read_b128 v[20:23], v14 offset:32
	ds_read2_b64 v[24:27], v17 offset0:32 offset1:40
	s_waitcnt lgkmcnt(2)
	v_fma_f32 v5, -v32, v28, v5
	v_fma_f32 v6, -v33, v28, v6
	v_fmac_f32_e32 v5, v33, v29
	v_fma_f32 v6, -v32, v29, v6
	v_fma_f32 v5, -v34, v30, v5
	v_fma_f32 v6, -v35, v30, v6
	v_fmac_f32_e32 v5, v35, v31
	v_fma_f32 v6, -v34, v31, v6
	;; [unrolled: 11-line block ×3, first 2 shown]
	s_waitcnt lgkmcnt(0)
	v_fma_f32 v5, -v32, v28, v5
	v_fma_f32 v6, -v33, v28, v6
	v_fmac_f32_e32 v5, v33, v29
	v_fma_f32 v6, -v32, v29, v6
	v_fma_f32 v5, -v34, v30, v5
	;; [unrolled: 1-line block ×3, first 2 shown]
	v_fmac_f32_e32 v5, v35, v31
	v_fma_f32 v6, -v34, v31, v6
	s_branch .LBB50_9
.LBB50_26:                              ;   in Loop: Header=BB50_11 Depth=1
                                        ; implicit-def: $vgpr10
	s_branch .LBB50_14
.LBB50_27:
	s_or_b64 exec, exec, s[24:25]
.LBB50_28:
	s_or_b64 exec, exec, s[22:23]
	s_cmp_gt_i32 s33, 0
	v_cmp_eq_u32_e32 vcc, v10, v1
	s_cselect_b64 s[2:3], -1, 0
	s_mov_b32 s18, 0
	s_and_b64 s[4:5], s[2:3], vcc
	s_mov_b64 s[2:3], 0
	s_and_saveexec_b64 s[6:7], s[4:5]
	s_cbranch_execnz .LBB50_32
; %bb.29:
	s_or_b64 exec, exec, s[6:7]
	s_and_saveexec_b64 s[4:5], s[0:1]
	s_cbranch_execnz .LBB50_46
.LBB50_30:
	s_or_b64 exec, exec, s[4:5]
	v_cmp_eq_u32_e32 vcc, 0, v4
	s_and_b64 exec, exec, vcc
	s_cbranch_execnz .LBB50_47
.LBB50_31:
	s_endpgm
.LBB50_32:
	s_cmp_eq_u32 s9, 0
	v_mbcnt_lo_u32_b32 v0, -1, 0
	s_cselect_b64 s[2:3], -1, 0
	v_mbcnt_hi_u32_b32 v0, -1, v0
	v_cndmask_b32_e64 v7, 0, 1, s[2:3]
	v_and_b32_e32 v0, 64, v0
	v_lshl_add_u32 v9, v4, 3, v13
	s_mov_b64 s[16:17], 0
	v_cmp_ne_u32_e64 s[2:3], 1, v7
                                        ; implicit-def: $sgpr10_sgpr11
	s_and_b64 vcc, exec, s[2:3]
	s_cbranch_vccz .LBB50_34
.LBB50_33:
	v_mov_b32_e32 v7, 1.0
	v_mov_b32_e32 v8, 0
	s_branch .LBB50_35
.LBB50_34:
	ds_read_b64 v[7:8], v13
.LBB50_35:
	v_and_or_b32 v10, s18, 63, v0
	v_lshlrev_b32_e32 v10, 2, v10
	ds_bpermute_b32 v11, v10, v5
	ds_bpermute_b32 v10, v10, v6
	s_waitcnt lgkmcnt(0)
	v_cmp_neq_f32_e32 vcc, 0, v7
	v_cmp_neq_f32_e64 s[4:5], 0, v8
	s_or_b64 s[22:23], vcc, s[4:5]
	s_or_b64 s[10:11], s[10:11], exec
	s_and_saveexec_b64 s[4:5], s[22:23]
	s_cbranch_execz .LBB50_37
; %bb.36:
	v_mul_f32_e32 v12, v8, v8
	v_fmac_f32_e32 v12, v7, v7
	v_div_scale_f32 v14, s[22:23], v12, v12, 1.0
	v_div_scale_f32 v15, vcc, 1.0, v12, 1.0
	s_andn2_b64 s[10:11], s[10:11], exec
	s_and_b64 s[16:17], s[16:17], exec
	s_or_b64 s[10:11], s[10:11], s[16:17]
	v_rcp_f32_e32 v16, v14
	v_fma_f32 v17, -v14, v16, 1.0
	v_fmac_f32_e32 v16, v17, v16
	v_mul_f32_e32 v17, v15, v16
	v_fma_f32 v18, -v14, v17, v15
	v_fmac_f32_e32 v17, v18, v16
	v_fma_f32 v14, -v14, v17, v15
	v_div_fmas_f32 v14, v14, v16, v17
	v_mul_f32_e32 v15, v8, v10
	v_mul_f32_e64 v8, v8, -v11
	v_fmac_f32_e32 v15, v11, v7
	v_fmac_f32_e32 v8, v10, v7
	v_div_fixup_f32 v7, v14, v12, 1.0
	v_mul_f32_e32 v11, v7, v15
	v_mul_f32_e32 v10, v7, v8
.LBB50_37:
	s_or_b64 exec, exec, s[4:5]
	s_and_saveexec_b64 s[4:5], s[0:1]
	s_cbranch_execz .LBB50_43
; %bb.38:
	v_cmp_ge_u32_e32 vcc, s18, v4
	s_and_saveexec_b64 s[16:17], vcc
	s_xor_b64 s[16:17], exec, s[16:17]
; %bb.39:
	v_cmp_eq_u32_e32 vcc, s18, v4
	v_cndmask_b32_e32 v5, v5, v11, vcc
	v_cndmask_b32_e32 v6, v6, v10, vcc
                                        ; implicit-def: $vgpr11
                                        ; implicit-def: $vgpr10
; %bb.40:
	s_andn2_saveexec_b64 s[16:17], s[16:17]
	s_cbranch_execz .LBB50_42
; %bb.41:
	ds_read_b64 v[7:8], v9
	s_waitcnt lgkmcnt(0)
	v_fma_f32 v5, -v11, v7, v5
	v_fma_f32 v6, -v10, v7, v6
	v_fmac_f32_e32 v5, v10, v8
	v_fma_f32 v6, -v11, v8, v6
.LBB50_42:
	s_or_b64 exec, exec, s[16:17]
.LBB50_43:
	s_or_b64 exec, exec, s[4:5]
	s_add_i32 s18, s18, 1
	v_add_u32_e32 v9, 64, v9
	s_cmp_lg_u32 s33, s18
	v_add_u32_e32 v13, 0x48, v13
	s_cbranch_scc0 .LBB50_45
; %bb.44:
	s_mov_b64 s[16:17], s[10:11]
	s_and_b64 vcc, exec, s[2:3]
	s_cbranch_vccnz .LBB50_33
	s_branch .LBB50_34
.LBB50_45:
	s_and_b64 s[2:3], s[10:11], exec
	s_or_b64 exec, exec, s[6:7]
	s_and_saveexec_b64 s[4:5], s[0:1]
	s_cbranch_execz .LBB50_30
.LBB50_46:
	v_mad_u64_u32 v[7:8], s[0:1], v1, s33, v[4:5]
	v_mov_b32_e32 v0, s13
	v_ashrrev_i32_e32 v8, 31, v7
	v_lshlrev_b64 v[7:8], 3, v[7:8]
	v_add_co_u32_e32 v7, vcc, s12, v7
	v_addc_co_u32_e32 v8, vcc, v0, v8, vcc
	global_store_dwordx2 v[7:8], v[5:6], off
	s_or_b64 exec, exec, s[4:5]
	v_cmp_eq_u32_e32 vcc, 0, v4
	s_and_b64 exec, exec, vcc
	s_cbranch_execz .LBB50_31
.LBB50_47:
	v_mov_b32_e32 v0, s15
	v_add_co_u32_e32 v2, vcc, s14, v2
	v_addc_co_u32_e32 v3, vcc, v0, v3, vcc
	v_mov_b32_e32 v0, 1
	s_waitcnt vmcnt(0) lgkmcnt(0)
	global_store_dword v[2:3], v0, off
	s_and_b64 exec, exec, s[2:3]
	s_cbranch_execz .LBB50_31
; %bb.48:
	s_mov_b64 s[0:1], exec
	v_add_u32_e32 v0, s8, v1
	s_brev_b32 s2, -2
.LBB50_49:                              ; =>This Inner Loop Header: Depth=1
	s_ff1_i32_b64 s3, s[0:1]
	v_readlane_b32 s6, v0, s3
	s_lshl_b64 s[4:5], 1, s3
	s_min_i32 s2, s2, s6
	s_andn2_b64 s[0:1], s[0:1], s[4:5]
	s_cmp_lg_u64 s[0:1], 0
	s_cbranch_scc1 .LBB50_49
; %bb.50:
	v_mbcnt_lo_u32_b32 v0, exec_lo, 0
	v_mbcnt_hi_u32_b32 v0, exec_hi, v0
	v_cmp_eq_u32_e32 vcc, 0, v0
	s_and_saveexec_b64 s[0:1], vcc
	s_xor_b64 s[0:1], exec, s[0:1]
	s_cbranch_execz .LBB50_31
; %bb.51:
	v_mov_b32_e32 v0, 0
	v_mov_b32_e32 v1, s2
	global_atomic_smin v0, v1, s[20:21]
	s_endpgm
	.section	.rodata,"a",@progbits
	.p2align	6, 0x0
	.amdhsa_kernel _ZN9rocsparseL18bsrsv_lower_sharedILj128ELj64ELi8ELb0E21rocsparse_complex_numIfEEEviNS_24const_host_device_scalarIT3_EEPKiS7_PKS4_iS9_PS4_PiSB_SB_21rocsparse_index_base_20rocsparse_diag_type_20rocsparse_direction_b
		.amdhsa_group_segment_fixed_size 1152
		.amdhsa_private_segment_fixed_size 0
		.amdhsa_kernarg_size 104
		.amdhsa_user_sgpr_count 6
		.amdhsa_user_sgpr_private_segment_buffer 1
		.amdhsa_user_sgpr_dispatch_ptr 0
		.amdhsa_user_sgpr_queue_ptr 0
		.amdhsa_user_sgpr_kernarg_segment_ptr 1
		.amdhsa_user_sgpr_dispatch_id 0
		.amdhsa_user_sgpr_flat_scratch_init 0
		.amdhsa_user_sgpr_private_segment_size 0
		.amdhsa_uses_dynamic_stack 0
		.amdhsa_system_sgpr_private_segment_wavefront_offset 0
		.amdhsa_system_sgpr_workgroup_id_x 1
		.amdhsa_system_sgpr_workgroup_id_y 0
		.amdhsa_system_sgpr_workgroup_id_z 0
		.amdhsa_system_sgpr_workgroup_info 0
		.amdhsa_system_vgpr_workitem_id 0
		.amdhsa_next_free_vgpr 36
		.amdhsa_next_free_sgpr 34
		.amdhsa_reserve_vcc 1
		.amdhsa_reserve_flat_scratch 0
		.amdhsa_float_round_mode_32 0
		.amdhsa_float_round_mode_16_64 0
		.amdhsa_float_denorm_mode_32 3
		.amdhsa_float_denorm_mode_16_64 3
		.amdhsa_dx10_clamp 1
		.amdhsa_ieee_mode 1
		.amdhsa_fp16_overflow 0
		.amdhsa_exception_fp_ieee_invalid_op 0
		.amdhsa_exception_fp_denorm_src 0
		.amdhsa_exception_fp_ieee_div_zero 0
		.amdhsa_exception_fp_ieee_overflow 0
		.amdhsa_exception_fp_ieee_underflow 0
		.amdhsa_exception_fp_ieee_inexact 0
		.amdhsa_exception_int_div_zero 0
	.end_amdhsa_kernel
	.section	.text._ZN9rocsparseL18bsrsv_lower_sharedILj128ELj64ELi8ELb0E21rocsparse_complex_numIfEEEviNS_24const_host_device_scalarIT3_EEPKiS7_PKS4_iS9_PS4_PiSB_SB_21rocsparse_index_base_20rocsparse_diag_type_20rocsparse_direction_b,"axG",@progbits,_ZN9rocsparseL18bsrsv_lower_sharedILj128ELj64ELi8ELb0E21rocsparse_complex_numIfEEEviNS_24const_host_device_scalarIT3_EEPKiS7_PKS4_iS9_PS4_PiSB_SB_21rocsparse_index_base_20rocsparse_diag_type_20rocsparse_direction_b,comdat
.Lfunc_end50:
	.size	_ZN9rocsparseL18bsrsv_lower_sharedILj128ELj64ELi8ELb0E21rocsparse_complex_numIfEEEviNS_24const_host_device_scalarIT3_EEPKiS7_PKS4_iS9_PS4_PiSB_SB_21rocsparse_index_base_20rocsparse_diag_type_20rocsparse_direction_b, .Lfunc_end50-_ZN9rocsparseL18bsrsv_lower_sharedILj128ELj64ELi8ELb0E21rocsparse_complex_numIfEEEviNS_24const_host_device_scalarIT3_EEPKiS7_PKS4_iS9_PS4_PiSB_SB_21rocsparse_index_base_20rocsparse_diag_type_20rocsparse_direction_b
                                        ; -- End function
	.set _ZN9rocsparseL18bsrsv_lower_sharedILj128ELj64ELi8ELb0E21rocsparse_complex_numIfEEEviNS_24const_host_device_scalarIT3_EEPKiS7_PKS4_iS9_PS4_PiSB_SB_21rocsparse_index_base_20rocsparse_diag_type_20rocsparse_direction_b.num_vgpr, 36
	.set _ZN9rocsparseL18bsrsv_lower_sharedILj128ELj64ELi8ELb0E21rocsparse_complex_numIfEEEviNS_24const_host_device_scalarIT3_EEPKiS7_PKS4_iS9_PS4_PiSB_SB_21rocsparse_index_base_20rocsparse_diag_type_20rocsparse_direction_b.num_agpr, 0
	.set _ZN9rocsparseL18bsrsv_lower_sharedILj128ELj64ELi8ELb0E21rocsparse_complex_numIfEEEviNS_24const_host_device_scalarIT3_EEPKiS7_PKS4_iS9_PS4_PiSB_SB_21rocsparse_index_base_20rocsparse_diag_type_20rocsparse_direction_b.numbered_sgpr, 34
	.set _ZN9rocsparseL18bsrsv_lower_sharedILj128ELj64ELi8ELb0E21rocsparse_complex_numIfEEEviNS_24const_host_device_scalarIT3_EEPKiS7_PKS4_iS9_PS4_PiSB_SB_21rocsparse_index_base_20rocsparse_diag_type_20rocsparse_direction_b.num_named_barrier, 0
	.set _ZN9rocsparseL18bsrsv_lower_sharedILj128ELj64ELi8ELb0E21rocsparse_complex_numIfEEEviNS_24const_host_device_scalarIT3_EEPKiS7_PKS4_iS9_PS4_PiSB_SB_21rocsparse_index_base_20rocsparse_diag_type_20rocsparse_direction_b.private_seg_size, 0
	.set _ZN9rocsparseL18bsrsv_lower_sharedILj128ELj64ELi8ELb0E21rocsparse_complex_numIfEEEviNS_24const_host_device_scalarIT3_EEPKiS7_PKS4_iS9_PS4_PiSB_SB_21rocsparse_index_base_20rocsparse_diag_type_20rocsparse_direction_b.uses_vcc, 1
	.set _ZN9rocsparseL18bsrsv_lower_sharedILj128ELj64ELi8ELb0E21rocsparse_complex_numIfEEEviNS_24const_host_device_scalarIT3_EEPKiS7_PKS4_iS9_PS4_PiSB_SB_21rocsparse_index_base_20rocsparse_diag_type_20rocsparse_direction_b.uses_flat_scratch, 0
	.set _ZN9rocsparseL18bsrsv_lower_sharedILj128ELj64ELi8ELb0E21rocsparse_complex_numIfEEEviNS_24const_host_device_scalarIT3_EEPKiS7_PKS4_iS9_PS4_PiSB_SB_21rocsparse_index_base_20rocsparse_diag_type_20rocsparse_direction_b.has_dyn_sized_stack, 0
	.set _ZN9rocsparseL18bsrsv_lower_sharedILj128ELj64ELi8ELb0E21rocsparse_complex_numIfEEEviNS_24const_host_device_scalarIT3_EEPKiS7_PKS4_iS9_PS4_PiSB_SB_21rocsparse_index_base_20rocsparse_diag_type_20rocsparse_direction_b.has_recursion, 0
	.set _ZN9rocsparseL18bsrsv_lower_sharedILj128ELj64ELi8ELb0E21rocsparse_complex_numIfEEEviNS_24const_host_device_scalarIT3_EEPKiS7_PKS4_iS9_PS4_PiSB_SB_21rocsparse_index_base_20rocsparse_diag_type_20rocsparse_direction_b.has_indirect_call, 0
	.section	.AMDGPU.csdata,"",@progbits
; Kernel info:
; codeLenInByte = 1844
; TotalNumSgprs: 38
; NumVgprs: 36
; ScratchSize: 0
; MemoryBound: 0
; FloatMode: 240
; IeeeMode: 1
; LDSByteSize: 1152 bytes/workgroup (compile time only)
; SGPRBlocks: 4
; VGPRBlocks: 8
; NumSGPRsForWavesPerEU: 38
; NumVGPRsForWavesPerEU: 36
; Occupancy: 7
; WaveLimiterHint : 1
; COMPUTE_PGM_RSRC2:SCRATCH_EN: 0
; COMPUTE_PGM_RSRC2:USER_SGPR: 6
; COMPUTE_PGM_RSRC2:TRAP_HANDLER: 0
; COMPUTE_PGM_RSRC2:TGID_X_EN: 1
; COMPUTE_PGM_RSRC2:TGID_Y_EN: 0
; COMPUTE_PGM_RSRC2:TGID_Z_EN: 0
; COMPUTE_PGM_RSRC2:TIDIG_COMP_CNT: 0
	.section	.text._ZN9rocsparseL18bsrsv_upper_sharedILj128ELj64ELi8ELb1E21rocsparse_complex_numIfEEEviNS_24const_host_device_scalarIT3_EEPKiS7_PKS4_iS9_PS4_PiSB_SB_21rocsparse_index_base_20rocsparse_diag_type_20rocsparse_direction_b,"axG",@progbits,_ZN9rocsparseL18bsrsv_upper_sharedILj128ELj64ELi8ELb1E21rocsparse_complex_numIfEEEviNS_24const_host_device_scalarIT3_EEPKiS7_PKS4_iS9_PS4_PiSB_SB_21rocsparse_index_base_20rocsparse_diag_type_20rocsparse_direction_b,comdat
	.globl	_ZN9rocsparseL18bsrsv_upper_sharedILj128ELj64ELi8ELb1E21rocsparse_complex_numIfEEEviNS_24const_host_device_scalarIT3_EEPKiS7_PKS4_iS9_PS4_PiSB_SB_21rocsparse_index_base_20rocsparse_diag_type_20rocsparse_direction_b ; -- Begin function _ZN9rocsparseL18bsrsv_upper_sharedILj128ELj64ELi8ELb1E21rocsparse_complex_numIfEEEviNS_24const_host_device_scalarIT3_EEPKiS7_PKS4_iS9_PS4_PiSB_SB_21rocsparse_index_base_20rocsparse_diag_type_20rocsparse_direction_b
	.p2align	8
	.type	_ZN9rocsparseL18bsrsv_upper_sharedILj128ELj64ELi8ELb1E21rocsparse_complex_numIfEEEviNS_24const_host_device_scalarIT3_EEPKiS7_PKS4_iS9_PS4_PiSB_SB_21rocsparse_index_base_20rocsparse_diag_type_20rocsparse_direction_b,@function
_ZN9rocsparseL18bsrsv_upper_sharedILj128ELj64ELi8ELb1E21rocsparse_complex_numIfEEEviNS_24const_host_device_scalarIT3_EEPKiS7_PKS4_iS9_PS4_PiSB_SB_21rocsparse_index_base_20rocsparse_diag_type_20rocsparse_direction_b: ; @_ZN9rocsparseL18bsrsv_upper_sharedILj128ELj64ELi8ELb1E21rocsparse_complex_numIfEEEviNS_24const_host_device_scalarIT3_EEPKiS7_PKS4_iS9_PS4_PiSB_SB_21rocsparse_index_base_20rocsparse_diag_type_20rocsparse_direction_b
; %bb.0:
	s_load_dwordx4 s[8:11], s[4:5], 0x58
	s_load_dwordx2 s[2:3], s[4:5], 0x8
	s_waitcnt lgkmcnt(0)
	s_bitcmp1_b32 s11, 0
	s_cselect_b64 s[12:13], -1, 0
	s_xor_b64 s[0:1], s[12:13], -1
	s_and_b64 vcc, exec, s[12:13]
	s_mov_b32 s11, s2
	s_cbranch_vccnz .LBB51_2
; %bb.1:
	s_load_dword s11, s[2:3], 0x0
.LBB51_2:
	s_andn2_b64 vcc, exec, s[0:1]
	s_cbranch_vccnz .LBB51_4
; %bb.3:
	s_load_dword s3, s[2:3], 0x4
.LBB51_4:
	s_nop 0
	s_load_dword s2, s[4:5], 0x0
	s_lshl_b32 s0, s6, 1
	v_lshrrev_b32_e32 v13, 6, v0
	s_and_b32 s0, s0, 0x3fffffe
	v_or_b32_e32 v1, s0, v13
	s_waitcnt lgkmcnt(0)
	v_cmp_gt_i32_e32 vcc, s2, v1
	s_and_saveexec_b64 s[0:1], vcc
	s_cbranch_execz .LBB51_33
; %bb.5:
	s_load_dwordx2 s[0:1], s[4:5], 0x48
	s_load_dwordx4 s[12:15], s[4:5], 0x38
	v_lshlrev_b32_e32 v1, 2, v1
	v_mov_b32_e32 v8, 0
	v_mov_b32_e32 v9, 0
	s_waitcnt lgkmcnt(0)
	global_load_dword v1, v1, s[0:1]
	s_load_dwordx2 s[0:1], s[4:5], 0x10
	s_load_dword s33, s[4:5], 0x28
	s_waitcnt lgkmcnt(0)
	v_mov_b32_e32 v5, s1
	s_waitcnt vmcnt(0)
	v_ashrrev_i32_e32 v2, 31, v1
	v_lshlrev_b64 v[2:3], 2, v[1:2]
	v_add_co_u32_e32 v4, vcc, s0, v2
	v_addc_co_u32_e32 v5, vcc, v5, v3, vcc
	global_load_dwordx2 v[6:7], v[4:5], off
	v_and_b32_e32 v4, 63, v0
	v_cmp_gt_i32_e64 s[0:1], s33, v4
	s_and_saveexec_b64 s[6:7], s[0:1]
	s_cbranch_execz .LBB51_7
; %bb.6:
	v_mad_u64_u32 v[8:9], s[16:17], v1, s33, v[4:5]
	s_load_dwordx2 s[16:17], s[4:5], 0x30
	v_ashrrev_i32_e32 v9, 31, v8
	v_lshlrev_b64 v[8:9], 3, v[8:9]
	s_waitcnt lgkmcnt(0)
	v_mov_b32_e32 v5, s17
	v_add_co_u32_e32 v8, vcc, s16, v8
	v_addc_co_u32_e32 v9, vcc, v5, v9, vcc
	global_load_dwordx2 v[8:9], v[8:9], off
.LBB51_7:
	s_or_b64 exec, exec, s[6:7]
	s_load_dwordx2 s[20:21], s[4:5], 0x50
	s_waitcnt vmcnt(0)
	v_subrev_u32_e32 v15, s8, v6
	v_mul_f32_e64 v5, v9, -s3
	v_mul_f32_e32 v6, s11, v9
	v_xad_u32 v7, s8, -1, v7
	v_fmac_f32_e32 v5, s11, v8
	v_fmac_f32_e32 v6, s3, v8
	v_cmp_ge_i32_e32 vcc, v7, v15
	v_mov_b32_e32 v10, s2
	v_lshlrev_b32_e32 v14, 3, v4
	s_and_saveexec_b64 s[22:23], vcc
	s_cbranch_execz .LBB51_30
; %bb.8:
	s_load_dwordx4 s[16:19], s[4:5], 0x18
	v_and_b32_e32 v8, 64, v0
	v_lshlrev_b32_e32 v10, 3, v8
	v_and_b32_e32 v0, 7, v0
	v_lshrrev_b32_e32 v9, 3, v4
	v_or_b32_e32 v16, 0x400, v8
	v_lshl_or_b32 v8, v0, 3, v10
	v_or_b32_e32 v18, v10, v14
	v_max_i32_e32 v10, v0, v9
	s_cmp_lg_u32 s10, 0
	v_cmp_gt_i32_e64 s[4:5], s33, v10
	v_lshlrev_b32_e32 v10, 6, v9
	s_cselect_b64 s[10:11], -1, 0
	v_cmp_gt_u32_e64 s[2:3], 8, v4
	v_add_u32_e32 v17, v16, v14
	s_mov_b64 s[24:25], 0
	s_waitcnt lgkmcnt(0)
	v_mov_b32_e32 v19, s17
	v_add_u32_e32 v20, v8, v10
	s_branch .LBB51_11
.LBB51_9:                               ;   in Loop: Header=BB51_11 Depth=1
	s_or_b64 exec, exec, s[6:7]
.LBB51_10:                              ;   in Loop: Header=BB51_11 Depth=1
	s_or_b64 exec, exec, s[26:27]
	v_cmp_le_i32_e64 s[6:7], v7, v15
	s_xor_b64 s[26:27], vcc, -1
	s_or_b64 s[6:7], s[26:27], s[6:7]
	v_add_u32_e32 v8, -1, v7
	s_and_b64 s[6:7], exec, s[6:7]
	s_or_b64 s[24:25], s[6:7], s[24:25]
	v_mov_b32_e32 v7, v8
	s_andn2_b64 exec, exec, s[24:25]
	s_cbranch_execz .LBB51_29
.LBB51_11:                              ; =>This Loop Header: Depth=1
                                        ;     Child Loop BB51_20 Depth 2
                                        ;       Child Loop BB51_21 Depth 3
	v_ashrrev_i32_e32 v8, 31, v7
	v_lshlrev_b64 v[10:11], 2, v[7:8]
	v_mov_b32_e32 v12, 0
	v_add_co_u32_e32 v10, vcc, s16, v10
	v_addc_co_u32_e32 v11, vcc, v19, v11, vcc
	global_load_dword v8, v[10:11], off
	v_mov_b32_e32 v11, 0
	s_and_saveexec_b64 s[6:7], s[4:5]
	s_cbranch_execz .LBB51_16
; %bb.12:                               ;   in Loop: Header=BB51_11 Depth=1
	v_mul_lo_u32 v12, v7, s33
	s_and_b64 vcc, exec, s[10:11]
	s_cbranch_vccz .LBB51_28
; %bb.13:                               ;   in Loop: Header=BB51_11 Depth=1
	v_add_u32_e32 v10, v12, v9
	v_mad_u64_u32 v[10:11], s[26:27], v10, s33, v[0:1]
	s_cbranch_execnz .LBB51_15
.LBB51_14:                              ;   in Loop: Header=BB51_11 Depth=1
	v_add_u32_e32 v10, v12, v0
	v_mad_u64_u32 v[10:11], s[26:27], v10, s33, v[9:10]
.LBB51_15:                              ;   in Loop: Header=BB51_11 Depth=1
	v_ashrrev_i32_e32 v11, 31, v10
	v_lshlrev_b64 v[10:11], 3, v[10:11]
	v_mov_b32_e32 v12, s19
	v_add_co_u32_e32 v10, vcc, s18, v10
	v_addc_co_u32_e32 v11, vcc, v12, v11, vcc
	global_load_dwordx2 v[11:12], v[10:11], off
.LBB51_16:                              ;   in Loop: Header=BB51_11 Depth=1
	s_or_b64 exec, exec, s[6:7]
	s_waitcnt vmcnt(0)
	v_subrev_u32_e32 v10, s8, v8
	v_cmp_gt_i32_e32 vcc, v10, v1
	ds_write_b64 v20, v[11:12]
	s_and_saveexec_b64 s[26:27], vcc
	s_cbranch_execz .LBB51_10
; %bb.17:                               ;   in Loop: Header=BB51_11 Depth=1
	v_ashrrev_i32_e32 v11, 31, v10
	v_lshlrev_b64 v[11:12], 2, v[10:11]
	v_mov_b32_e32 v8, s15
	v_add_co_u32_e64 v11, s[6:7], s14, v11
	v_addc_co_u32_e64 v12, s[6:7], v8, v12, s[6:7]
	global_load_dword v8, v[11:12], off glc
	s_waitcnt vmcnt(0)
	v_cmp_eq_u32_e64 s[6:7], 0, v8
	s_and_saveexec_b64 s[28:29], s[6:7]
	s_cbranch_execz .LBB51_22
; %bb.18:                               ;   in Loop: Header=BB51_11 Depth=1
	s_mov_b32 s17, 0
	s_mov_b64 s[30:31], 0
	s_branch .LBB51_20
.LBB51_19:                              ;   in Loop: Header=BB51_20 Depth=2
	global_load_dword v8, v[11:12], off glc
	s_cmpk_lt_u32 s17, 0xf43
	s_cselect_b64 s[6:7], -1, 0
	s_cmp_lg_u64 s[6:7], 0
	s_addc_u32 s17, s17, 0
	s_waitcnt vmcnt(0)
	v_cmp_ne_u32_e64 s[6:7], 0, v8
	s_or_b64 s[30:31], s[6:7], s[30:31]
	s_andn2_b64 exec, exec, s[30:31]
	s_cbranch_execz .LBB51_22
.LBB51_20:                              ;   Parent Loop BB51_11 Depth=1
                                        ; =>  This Loop Header: Depth=2
                                        ;       Child Loop BB51_21 Depth 3
	s_cmp_eq_u32 s17, 0
	s_mov_b32 s6, s17
	s_cbranch_scc1 .LBB51_19
.LBB51_21:                              ;   Parent Loop BB51_11 Depth=1
                                        ;     Parent Loop BB51_20 Depth=2
                                        ; =>    This Inner Loop Header: Depth=3
	s_add_i32 s6, s6, -1
	s_cmp_eq_u32 s6, 0
	s_sleep 1
	s_cbranch_scc0 .LBB51_21
	s_branch .LBB51_19
.LBB51_22:                              ;   in Loop: Header=BB51_11 Depth=1
	s_or_b64 exec, exec, s[28:29]
	s_waitcnt lgkmcnt(0)
	buffer_wbinvl1_vol
	s_and_saveexec_b64 s[28:29], s[2:3]
	s_cbranch_execz .LBB51_26
; %bb.23:                               ;   in Loop: Header=BB51_11 Depth=1
	v_mov_b32_e32 v12, 0
	v_mov_b32_e32 v11, 0
	s_and_saveexec_b64 s[30:31], s[0:1]
	s_cbranch_execz .LBB51_25
; %bb.24:                               ;   in Loop: Header=BB51_11 Depth=1
	v_mad_u64_u32 v[11:12], s[6:7], v10, s33, v[4:5]
	v_mov_b32_e32 v8, s13
	v_ashrrev_i32_e32 v12, 31, v11
	v_lshlrev_b64 v[11:12], 3, v[11:12]
	v_add_co_u32_e64 v11, s[6:7], s12, v11
	v_addc_co_u32_e64 v12, s[6:7], v8, v12, s[6:7]
	global_load_dwordx2 v[11:12], v[11:12], off
.LBB51_25:                              ;   in Loop: Header=BB51_11 Depth=1
	s_or_b64 exec, exec, s[30:31]
	s_waitcnt vmcnt(0)
	ds_write_b64 v17, v[11:12]
.LBB51_26:                              ;   in Loop: Header=BB51_11 Depth=1
	s_or_b64 exec, exec, s[28:29]
	s_waitcnt lgkmcnt(0)
	s_and_saveexec_b64 s[6:7], s[0:1]
	s_cbranch_execz .LBB51_9
; %bb.27:                               ;   in Loop: Header=BB51_11 Depth=1
	ds_read2_b64 v[21:24], v18 offset1:8
	ds_read_b128 v[25:28], v16
	ds_read_b128 v[29:32], v16 offset:16
	ds_read2_b64 v[33:36], v18 offset0:16 offset1:24
	s_waitcnt lgkmcnt(2)
	v_fma_f32 v5, -v21, v25, v5
	v_fma_f32 v6, -v22, v25, v6
	v_fmac_f32_e32 v5, v22, v26
	v_fma_f32 v6, -v21, v26, v6
	v_fma_f32 v5, -v23, v27, v5
	v_fma_f32 v6, -v24, v27, v6
	v_fmac_f32_e32 v5, v24, v28
	v_fma_f32 v6, -v23, v28, v6
	ds_read_b128 v[21:24], v16 offset:32
	ds_read2_b64 v[25:28], v18 offset0:32 offset1:40
	s_waitcnt lgkmcnt(2)
	v_fma_f32 v5, -v33, v29, v5
	v_fma_f32 v6, -v34, v29, v6
	v_fmac_f32_e32 v5, v34, v30
	v_fma_f32 v6, -v33, v30, v6
	v_fma_f32 v5, -v35, v31, v5
	v_fma_f32 v6, -v36, v31, v6
	v_fmac_f32_e32 v5, v36, v32
	v_fma_f32 v6, -v35, v32, v6
	ds_read_b128 v[29:32], v16 offset:48
	ds_read2_b64 v[33:36], v18 offset0:48 offset1:56
	s_waitcnt lgkmcnt(2)
	v_fma_f32 v5, -v25, v21, v5
	v_fma_f32 v6, -v26, v21, v6
	v_fmac_f32_e32 v5, v26, v22
	v_fma_f32 v6, -v25, v22, v6
	v_fma_f32 v5, -v27, v23, v5
	v_fma_f32 v6, -v28, v23, v6
	v_fmac_f32_e32 v5, v28, v24
	v_fma_f32 v6, -v27, v24, v6
	s_waitcnt lgkmcnt(0)
	v_fma_f32 v5, -v33, v29, v5
	v_fma_f32 v6, -v34, v29, v6
	v_fmac_f32_e32 v5, v34, v30
	v_fma_f32 v6, -v33, v30, v6
	v_fma_f32 v5, -v35, v31, v5
	;; [unrolled: 1-line block ×3, first 2 shown]
	v_fmac_f32_e32 v5, v36, v32
	v_fma_f32 v6, -v35, v32, v6
	s_branch .LBB51_9
.LBB51_28:                              ;   in Loop: Header=BB51_11 Depth=1
                                        ; implicit-def: $vgpr10
	s_branch .LBB51_14
.LBB51_29:
	s_or_b64 exec, exec, s[24:25]
.LBB51_30:
	s_or_b64 exec, exec, s[22:23]
	s_cmp_gt_i32 s33, 0
	v_cmp_eq_u32_e32 vcc, v10, v1
	s_cselect_b64 s[2:3], -1, 0
	s_and_b64 s[4:5], s[2:3], vcc
	s_mov_b64 s[2:3], 0
	s_and_saveexec_b64 s[6:7], s[4:5]
	s_cbranch_execnz .LBB51_34
; %bb.31:
	s_or_b64 exec, exec, s[6:7]
	s_and_saveexec_b64 s[4:5], s[0:1]
	s_cbranch_execnz .LBB51_48
.LBB51_32:
	s_or_b64 exec, exec, s[4:5]
	v_cmp_eq_u32_e32 vcc, 0, v4
	s_and_b64 exec, exec, vcc
	s_cbranch_execnz .LBB51_49
.LBB51_33:
	s_endpgm
.LBB51_34:
	v_lshlrev_b32_e32 v7, 9, v13
	v_lshl_add_u32 v8, s33, 6, v7
	s_movk_i32 s4, 0xffc0
	s_cmp_eq_u32 s9, 0
	v_add3_u32 v9, v8, v14, s4
	s_mul_i32 s4, s33, 0x48
	s_cselect_b64 s[2:3], -1, 0
	v_mbcnt_lo_u32_b32 v0, -1, 0
	v_add_u32_e32 v7, s4, v7
	v_mbcnt_hi_u32_b32 v0, -1, v0
	v_add_u32_e32 v10, 0xffffffb8, v7
	v_cndmask_b32_e64 v7, 0, 1, s[2:3]
	v_and_b32_e32 v0, 64, v0
	s_add_i32 s9, s33, -1
	s_mov_b64 s[16:17], 0
	v_cmp_ne_u32_e64 s[2:3], 1, v7
                                        ; implicit-def: $sgpr10_sgpr11
	s_and_b64 vcc, exec, s[2:3]
	s_cbranch_vccz .LBB51_36
.LBB51_35:
	v_mov_b32_e32 v7, 1.0
	v_mov_b32_e32 v8, 0
	s_branch .LBB51_37
.LBB51_36:
	ds_read_b64 v[7:8], v10
.LBB51_37:
	v_and_or_b32 v11, s9, 63, v0
	v_lshlrev_b32_e32 v11, 2, v11
	ds_bpermute_b32 v12, v11, v5
	ds_bpermute_b32 v11, v11, v6
	s_waitcnt lgkmcnt(0)
	v_cmp_neq_f32_e32 vcc, 0, v7
	v_cmp_neq_f32_e64 s[4:5], 0, v8
	s_or_b64 s[18:19], vcc, s[4:5]
	s_or_b64 s[10:11], s[10:11], exec
	s_and_saveexec_b64 s[4:5], s[18:19]
	s_cbranch_execz .LBB51_39
; %bb.38:
	v_mul_f32_e32 v13, v8, v8
	v_fmac_f32_e32 v13, v7, v7
	v_div_scale_f32 v14, s[18:19], v13, v13, 1.0
	v_div_scale_f32 v15, vcc, 1.0, v13, 1.0
	s_andn2_b64 s[10:11], s[10:11], exec
	s_and_b64 s[16:17], s[16:17], exec
	s_or_b64 s[10:11], s[10:11], s[16:17]
	v_rcp_f32_e32 v16, v14
	v_fma_f32 v17, -v14, v16, 1.0
	v_fmac_f32_e32 v16, v17, v16
	v_mul_f32_e32 v17, v15, v16
	v_fma_f32 v18, -v14, v17, v15
	v_fmac_f32_e32 v17, v18, v16
	v_fma_f32 v14, -v14, v17, v15
	v_div_fmas_f32 v14, v14, v16, v17
	v_mul_f32_e32 v15, v8, v11
	v_mul_f32_e64 v8, v8, -v12
	v_fmac_f32_e32 v15, v12, v7
	v_fmac_f32_e32 v8, v11, v7
	v_div_fixup_f32 v7, v14, v13, 1.0
	v_mul_f32_e32 v12, v7, v15
	v_mul_f32_e32 v11, v7, v8
.LBB51_39:
	s_or_b64 exec, exec, s[4:5]
	s_and_saveexec_b64 s[4:5], s[0:1]
	s_cbranch_execz .LBB51_45
; %bb.40:
	v_cmp_le_i32_e32 vcc, s9, v4
	s_and_saveexec_b64 s[16:17], vcc
	s_xor_b64 s[16:17], exec, s[16:17]
; %bb.41:
	v_cmp_eq_u32_e32 vcc, s9, v4
	v_cndmask_b32_e32 v5, v5, v12, vcc
	v_cndmask_b32_e32 v6, v6, v11, vcc
                                        ; implicit-def: $vgpr12
                                        ; implicit-def: $vgpr11
; %bb.42:
	s_andn2_saveexec_b64 s[16:17], s[16:17]
	s_cbranch_execz .LBB51_44
; %bb.43:
	ds_read_b64 v[7:8], v9
	s_waitcnt lgkmcnt(0)
	v_fma_f32 v5, -v12, v7, v5
	v_fma_f32 v6, -v11, v7, v6
	v_fmac_f32_e32 v5, v11, v8
	v_fma_f32 v6, -v12, v8, v6
.LBB51_44:
	s_or_b64 exec, exec, s[16:17]
.LBB51_45:
	s_or_b64 exec, exec, s[4:5]
	s_add_i32 s4, s9, -1
	s_add_i32 s5, s9, 1
	v_subrev_u32_e32 v9, 64, v9
	s_cmp_gt_u32 s5, 1
	v_add_u32_e32 v10, 0xffffffb8, v10
	s_cbranch_scc0 .LBB51_47
; %bb.46:
	s_mov_b64 s[16:17], s[10:11]
	s_mov_b32 s9, s4
	s_and_b64 vcc, exec, s[2:3]
	s_cbranch_vccnz .LBB51_35
	s_branch .LBB51_36
.LBB51_47:
	s_and_b64 s[2:3], s[10:11], exec
	s_or_b64 exec, exec, s[6:7]
	s_and_saveexec_b64 s[4:5], s[0:1]
	s_cbranch_execz .LBB51_32
.LBB51_48:
	v_mad_u64_u32 v[7:8], s[0:1], v1, s33, v[4:5]
	v_mov_b32_e32 v0, s13
	v_ashrrev_i32_e32 v8, 31, v7
	v_lshlrev_b64 v[7:8], 3, v[7:8]
	v_add_co_u32_e32 v7, vcc, s12, v7
	v_addc_co_u32_e32 v8, vcc, v0, v8, vcc
	global_store_dwordx2 v[7:8], v[5:6], off
	s_or_b64 exec, exec, s[4:5]
	v_cmp_eq_u32_e32 vcc, 0, v4
	s_and_b64 exec, exec, vcc
	s_cbranch_execz .LBB51_33
.LBB51_49:
	v_mov_b32_e32 v0, s15
	v_add_co_u32_e32 v2, vcc, s14, v2
	v_addc_co_u32_e32 v3, vcc, v0, v3, vcc
	v_mov_b32_e32 v0, 1
	s_waitcnt vmcnt(0) lgkmcnt(0)
	global_store_dword v[2:3], v0, off
	s_and_b64 exec, exec, s[2:3]
	s_cbranch_execz .LBB51_33
; %bb.50:
	s_mov_b64 s[0:1], exec
	v_add_u32_e32 v0, s8, v1
	s_brev_b32 s2, -2
.LBB51_51:                              ; =>This Inner Loop Header: Depth=1
	s_ff1_i32_b64 s3, s[0:1]
	v_readlane_b32 s6, v0, s3
	s_lshl_b64 s[4:5], 1, s3
	s_min_i32 s2, s2, s6
	s_andn2_b64 s[0:1], s[0:1], s[4:5]
	s_cmp_lg_u64 s[0:1], 0
	s_cbranch_scc1 .LBB51_51
; %bb.52:
	v_mbcnt_lo_u32_b32 v0, exec_lo, 0
	v_mbcnt_hi_u32_b32 v0, exec_hi, v0
	v_cmp_eq_u32_e32 vcc, 0, v0
	s_and_saveexec_b64 s[0:1], vcc
	s_xor_b64 s[0:1], exec, s[0:1]
	s_cbranch_execz .LBB51_33
; %bb.53:
	v_mov_b32_e32 v0, 0
	v_mov_b32_e32 v1, s2
	global_atomic_smin v0, v1, s[20:21]
	s_endpgm
	.section	.rodata,"a",@progbits
	.p2align	6, 0x0
	.amdhsa_kernel _ZN9rocsparseL18bsrsv_upper_sharedILj128ELj64ELi8ELb1E21rocsparse_complex_numIfEEEviNS_24const_host_device_scalarIT3_EEPKiS7_PKS4_iS9_PS4_PiSB_SB_21rocsparse_index_base_20rocsparse_diag_type_20rocsparse_direction_b
		.amdhsa_group_segment_fixed_size 1152
		.amdhsa_private_segment_fixed_size 0
		.amdhsa_kernarg_size 104
		.amdhsa_user_sgpr_count 6
		.amdhsa_user_sgpr_private_segment_buffer 1
		.amdhsa_user_sgpr_dispatch_ptr 0
		.amdhsa_user_sgpr_queue_ptr 0
		.amdhsa_user_sgpr_kernarg_segment_ptr 1
		.amdhsa_user_sgpr_dispatch_id 0
		.amdhsa_user_sgpr_flat_scratch_init 0
		.amdhsa_user_sgpr_private_segment_size 0
		.amdhsa_uses_dynamic_stack 0
		.amdhsa_system_sgpr_private_segment_wavefront_offset 0
		.amdhsa_system_sgpr_workgroup_id_x 1
		.amdhsa_system_sgpr_workgroup_id_y 0
		.amdhsa_system_sgpr_workgroup_id_z 0
		.amdhsa_system_sgpr_workgroup_info 0
		.amdhsa_system_vgpr_workitem_id 0
		.amdhsa_next_free_vgpr 37
		.amdhsa_next_free_sgpr 34
		.amdhsa_reserve_vcc 1
		.amdhsa_reserve_flat_scratch 0
		.amdhsa_float_round_mode_32 0
		.amdhsa_float_round_mode_16_64 0
		.amdhsa_float_denorm_mode_32 3
		.amdhsa_float_denorm_mode_16_64 3
		.amdhsa_dx10_clamp 1
		.amdhsa_ieee_mode 1
		.amdhsa_fp16_overflow 0
		.amdhsa_exception_fp_ieee_invalid_op 0
		.amdhsa_exception_fp_denorm_src 0
		.amdhsa_exception_fp_ieee_div_zero 0
		.amdhsa_exception_fp_ieee_overflow 0
		.amdhsa_exception_fp_ieee_underflow 0
		.amdhsa_exception_fp_ieee_inexact 0
		.amdhsa_exception_int_div_zero 0
	.end_amdhsa_kernel
	.section	.text._ZN9rocsparseL18bsrsv_upper_sharedILj128ELj64ELi8ELb1E21rocsparse_complex_numIfEEEviNS_24const_host_device_scalarIT3_EEPKiS7_PKS4_iS9_PS4_PiSB_SB_21rocsparse_index_base_20rocsparse_diag_type_20rocsparse_direction_b,"axG",@progbits,_ZN9rocsparseL18bsrsv_upper_sharedILj128ELj64ELi8ELb1E21rocsparse_complex_numIfEEEviNS_24const_host_device_scalarIT3_EEPKiS7_PKS4_iS9_PS4_PiSB_SB_21rocsparse_index_base_20rocsparse_diag_type_20rocsparse_direction_b,comdat
.Lfunc_end51:
	.size	_ZN9rocsparseL18bsrsv_upper_sharedILj128ELj64ELi8ELb1E21rocsparse_complex_numIfEEEviNS_24const_host_device_scalarIT3_EEPKiS7_PKS4_iS9_PS4_PiSB_SB_21rocsparse_index_base_20rocsparse_diag_type_20rocsparse_direction_b, .Lfunc_end51-_ZN9rocsparseL18bsrsv_upper_sharedILj128ELj64ELi8ELb1E21rocsparse_complex_numIfEEEviNS_24const_host_device_scalarIT3_EEPKiS7_PKS4_iS9_PS4_PiSB_SB_21rocsparse_index_base_20rocsparse_diag_type_20rocsparse_direction_b
                                        ; -- End function
	.set _ZN9rocsparseL18bsrsv_upper_sharedILj128ELj64ELi8ELb1E21rocsparse_complex_numIfEEEviNS_24const_host_device_scalarIT3_EEPKiS7_PKS4_iS9_PS4_PiSB_SB_21rocsparse_index_base_20rocsparse_diag_type_20rocsparse_direction_b.num_vgpr, 37
	.set _ZN9rocsparseL18bsrsv_upper_sharedILj128ELj64ELi8ELb1E21rocsparse_complex_numIfEEEviNS_24const_host_device_scalarIT3_EEPKiS7_PKS4_iS9_PS4_PiSB_SB_21rocsparse_index_base_20rocsparse_diag_type_20rocsparse_direction_b.num_agpr, 0
	.set _ZN9rocsparseL18bsrsv_upper_sharedILj128ELj64ELi8ELb1E21rocsparse_complex_numIfEEEviNS_24const_host_device_scalarIT3_EEPKiS7_PKS4_iS9_PS4_PiSB_SB_21rocsparse_index_base_20rocsparse_diag_type_20rocsparse_direction_b.numbered_sgpr, 34
	.set _ZN9rocsparseL18bsrsv_upper_sharedILj128ELj64ELi8ELb1E21rocsparse_complex_numIfEEEviNS_24const_host_device_scalarIT3_EEPKiS7_PKS4_iS9_PS4_PiSB_SB_21rocsparse_index_base_20rocsparse_diag_type_20rocsparse_direction_b.num_named_barrier, 0
	.set _ZN9rocsparseL18bsrsv_upper_sharedILj128ELj64ELi8ELb1E21rocsparse_complex_numIfEEEviNS_24const_host_device_scalarIT3_EEPKiS7_PKS4_iS9_PS4_PiSB_SB_21rocsparse_index_base_20rocsparse_diag_type_20rocsparse_direction_b.private_seg_size, 0
	.set _ZN9rocsparseL18bsrsv_upper_sharedILj128ELj64ELi8ELb1E21rocsparse_complex_numIfEEEviNS_24const_host_device_scalarIT3_EEPKiS7_PKS4_iS9_PS4_PiSB_SB_21rocsparse_index_base_20rocsparse_diag_type_20rocsparse_direction_b.uses_vcc, 1
	.set _ZN9rocsparseL18bsrsv_upper_sharedILj128ELj64ELi8ELb1E21rocsparse_complex_numIfEEEviNS_24const_host_device_scalarIT3_EEPKiS7_PKS4_iS9_PS4_PiSB_SB_21rocsparse_index_base_20rocsparse_diag_type_20rocsparse_direction_b.uses_flat_scratch, 0
	.set _ZN9rocsparseL18bsrsv_upper_sharedILj128ELj64ELi8ELb1E21rocsparse_complex_numIfEEEviNS_24const_host_device_scalarIT3_EEPKiS7_PKS4_iS9_PS4_PiSB_SB_21rocsparse_index_base_20rocsparse_diag_type_20rocsparse_direction_b.has_dyn_sized_stack, 0
	.set _ZN9rocsparseL18bsrsv_upper_sharedILj128ELj64ELi8ELb1E21rocsparse_complex_numIfEEEviNS_24const_host_device_scalarIT3_EEPKiS7_PKS4_iS9_PS4_PiSB_SB_21rocsparse_index_base_20rocsparse_diag_type_20rocsparse_direction_b.has_recursion, 0
	.set _ZN9rocsparseL18bsrsv_upper_sharedILj128ELj64ELi8ELb1E21rocsparse_complex_numIfEEEviNS_24const_host_device_scalarIT3_EEPKiS7_PKS4_iS9_PS4_PiSB_SB_21rocsparse_index_base_20rocsparse_diag_type_20rocsparse_direction_b.has_indirect_call, 0
	.section	.AMDGPU.csdata,"",@progbits
; Kernel info:
; codeLenInByte = 1952
; TotalNumSgprs: 38
; NumVgprs: 37
; ScratchSize: 0
; MemoryBound: 0
; FloatMode: 240
; IeeeMode: 1
; LDSByteSize: 1152 bytes/workgroup (compile time only)
; SGPRBlocks: 4
; VGPRBlocks: 9
; NumSGPRsForWavesPerEU: 38
; NumVGPRsForWavesPerEU: 37
; Occupancy: 6
; WaveLimiterHint : 1
; COMPUTE_PGM_RSRC2:SCRATCH_EN: 0
; COMPUTE_PGM_RSRC2:USER_SGPR: 6
; COMPUTE_PGM_RSRC2:TRAP_HANDLER: 0
; COMPUTE_PGM_RSRC2:TGID_X_EN: 1
; COMPUTE_PGM_RSRC2:TGID_Y_EN: 0
; COMPUTE_PGM_RSRC2:TGID_Z_EN: 0
; COMPUTE_PGM_RSRC2:TIDIG_COMP_CNT: 0
	.section	.text._ZN9rocsparseL18bsrsv_upper_sharedILj128ELj64ELi8ELb0E21rocsparse_complex_numIfEEEviNS_24const_host_device_scalarIT3_EEPKiS7_PKS4_iS9_PS4_PiSB_SB_21rocsparse_index_base_20rocsparse_diag_type_20rocsparse_direction_b,"axG",@progbits,_ZN9rocsparseL18bsrsv_upper_sharedILj128ELj64ELi8ELb0E21rocsparse_complex_numIfEEEviNS_24const_host_device_scalarIT3_EEPKiS7_PKS4_iS9_PS4_PiSB_SB_21rocsparse_index_base_20rocsparse_diag_type_20rocsparse_direction_b,comdat
	.globl	_ZN9rocsparseL18bsrsv_upper_sharedILj128ELj64ELi8ELb0E21rocsparse_complex_numIfEEEviNS_24const_host_device_scalarIT3_EEPKiS7_PKS4_iS9_PS4_PiSB_SB_21rocsparse_index_base_20rocsparse_diag_type_20rocsparse_direction_b ; -- Begin function _ZN9rocsparseL18bsrsv_upper_sharedILj128ELj64ELi8ELb0E21rocsparse_complex_numIfEEEviNS_24const_host_device_scalarIT3_EEPKiS7_PKS4_iS9_PS4_PiSB_SB_21rocsparse_index_base_20rocsparse_diag_type_20rocsparse_direction_b
	.p2align	8
	.type	_ZN9rocsparseL18bsrsv_upper_sharedILj128ELj64ELi8ELb0E21rocsparse_complex_numIfEEEviNS_24const_host_device_scalarIT3_EEPKiS7_PKS4_iS9_PS4_PiSB_SB_21rocsparse_index_base_20rocsparse_diag_type_20rocsparse_direction_b,@function
_ZN9rocsparseL18bsrsv_upper_sharedILj128ELj64ELi8ELb0E21rocsparse_complex_numIfEEEviNS_24const_host_device_scalarIT3_EEPKiS7_PKS4_iS9_PS4_PiSB_SB_21rocsparse_index_base_20rocsparse_diag_type_20rocsparse_direction_b: ; @_ZN9rocsparseL18bsrsv_upper_sharedILj128ELj64ELi8ELb0E21rocsparse_complex_numIfEEEviNS_24const_host_device_scalarIT3_EEPKiS7_PKS4_iS9_PS4_PiSB_SB_21rocsparse_index_base_20rocsparse_diag_type_20rocsparse_direction_b
; %bb.0:
	s_load_dwordx4 s[8:11], s[4:5], 0x58
	s_load_dwordx2 s[2:3], s[4:5], 0x8
	s_waitcnt lgkmcnt(0)
	s_bitcmp1_b32 s11, 0
	s_cselect_b64 s[12:13], -1, 0
	s_xor_b64 s[0:1], s[12:13], -1
	s_and_b64 vcc, exec, s[12:13]
	s_mov_b32 s11, s2
	s_cbranch_vccnz .LBB52_2
; %bb.1:
	s_load_dword s11, s[2:3], 0x0
.LBB52_2:
	s_andn2_b64 vcc, exec, s[0:1]
	s_cbranch_vccnz .LBB52_4
; %bb.3:
	s_load_dword s3, s[2:3], 0x4
.LBB52_4:
	s_nop 0
	s_load_dword s2, s[4:5], 0x0
	s_lshl_b32 s0, s6, 1
	v_lshrrev_b32_e32 v13, 6, v0
	s_and_b32 s0, s0, 0x3fffffe
	v_or_b32_e32 v1, s0, v13
	s_waitcnt lgkmcnt(0)
	v_cmp_gt_i32_e32 vcc, s2, v1
	s_and_saveexec_b64 s[0:1], vcc
	s_cbranch_execz .LBB52_31
; %bb.5:
	s_load_dwordx2 s[0:1], s[4:5], 0x48
	s_load_dwordx4 s[12:15], s[4:5], 0x38
	v_lshlrev_b32_e32 v1, 2, v1
	v_mov_b32_e32 v8, 0
	v_mov_b32_e32 v9, 0
	s_waitcnt lgkmcnt(0)
	global_load_dword v1, v1, s[0:1]
	s_load_dwordx2 s[0:1], s[4:5], 0x10
	s_load_dword s33, s[4:5], 0x28
	s_waitcnt lgkmcnt(0)
	v_mov_b32_e32 v5, s1
	s_waitcnt vmcnt(0)
	v_ashrrev_i32_e32 v2, 31, v1
	v_lshlrev_b64 v[2:3], 2, v[1:2]
	v_add_co_u32_e32 v4, vcc, s0, v2
	v_addc_co_u32_e32 v5, vcc, v5, v3, vcc
	global_load_dwordx2 v[6:7], v[4:5], off
	v_and_b32_e32 v4, 63, v0
	v_cmp_gt_i32_e64 s[0:1], s33, v4
	s_and_saveexec_b64 s[6:7], s[0:1]
	s_cbranch_execz .LBB52_7
; %bb.6:
	v_mad_u64_u32 v[8:9], s[16:17], v1, s33, v[4:5]
	s_load_dwordx2 s[16:17], s[4:5], 0x30
	v_ashrrev_i32_e32 v9, 31, v8
	v_lshlrev_b64 v[8:9], 3, v[8:9]
	s_waitcnt lgkmcnt(0)
	v_mov_b32_e32 v5, s17
	v_add_co_u32_e32 v8, vcc, s16, v8
	v_addc_co_u32_e32 v9, vcc, v5, v9, vcc
	global_load_dwordx2 v[8:9], v[8:9], off
.LBB52_7:
	s_or_b64 exec, exec, s[6:7]
	s_load_dwordx2 s[20:21], s[4:5], 0x50
	s_waitcnt vmcnt(0)
	v_subrev_u32_e32 v15, s8, v6
	v_mul_f32_e64 v5, v9, -s3
	v_mul_f32_e32 v6, s11, v9
	v_xad_u32 v7, s8, -1, v7
	v_fmac_f32_e32 v5, s11, v8
	v_fmac_f32_e32 v6, s3, v8
	v_cmp_ge_i32_e32 vcc, v7, v15
	v_mov_b32_e32 v10, s2
	v_lshlrev_b32_e32 v14, 3, v4
	s_and_saveexec_b64 s[22:23], vcc
	s_cbranch_execz .LBB52_28
; %bb.8:
	s_load_dwordx4 s[16:19], s[4:5], 0x18
	v_and_b32_e32 v8, 64, v0
	v_lshlrev_b32_e32 v10, 3, v8
	v_and_b32_e32 v0, 7, v0
	v_lshrrev_b32_e32 v9, 3, v4
	v_or_b32_e32 v16, 0x400, v8
	v_lshl_or_b32 v8, v0, 3, v10
	v_or_b32_e32 v18, v10, v14
	v_max_i32_e32 v10, v0, v9
	s_cmp_lg_u32 s10, 0
	v_cmp_gt_i32_e64 s[4:5], s33, v10
	v_lshlrev_b32_e32 v10, 6, v9
	s_cselect_b64 s[10:11], -1, 0
	v_cmp_gt_u32_e64 s[2:3], 8, v4
	v_add_u32_e32 v17, v16, v14
	s_mov_b64 s[24:25], 0
	s_waitcnt lgkmcnt(0)
	v_mov_b32_e32 v19, s17
	v_add_u32_e32 v20, v8, v10
	s_branch .LBB52_11
.LBB52_9:                               ;   in Loop: Header=BB52_11 Depth=1
	s_or_b64 exec, exec, s[6:7]
.LBB52_10:                              ;   in Loop: Header=BB52_11 Depth=1
	s_or_b64 exec, exec, s[26:27]
	v_cmp_le_i32_e64 s[6:7], v7, v15
	s_xor_b64 s[26:27], vcc, -1
	s_or_b64 s[6:7], s[26:27], s[6:7]
	v_add_u32_e32 v8, -1, v7
	s_and_b64 s[6:7], exec, s[6:7]
	s_or_b64 s[24:25], s[6:7], s[24:25]
	v_mov_b32_e32 v7, v8
	s_andn2_b64 exec, exec, s[24:25]
	s_cbranch_execz .LBB52_27
.LBB52_11:                              ; =>This Loop Header: Depth=1
                                        ;     Child Loop BB52_19 Depth 2
	v_ashrrev_i32_e32 v8, 31, v7
	v_lshlrev_b64 v[10:11], 2, v[7:8]
	v_mov_b32_e32 v12, 0
	v_add_co_u32_e32 v10, vcc, s16, v10
	v_addc_co_u32_e32 v11, vcc, v19, v11, vcc
	global_load_dword v8, v[10:11], off
	v_mov_b32_e32 v11, 0
	s_and_saveexec_b64 s[6:7], s[4:5]
	s_cbranch_execz .LBB52_16
; %bb.12:                               ;   in Loop: Header=BB52_11 Depth=1
	v_mul_lo_u32 v12, v7, s33
	s_and_b64 vcc, exec, s[10:11]
	s_cbranch_vccz .LBB52_26
; %bb.13:                               ;   in Loop: Header=BB52_11 Depth=1
	v_add_u32_e32 v10, v12, v9
	v_mad_u64_u32 v[10:11], s[26:27], v10, s33, v[0:1]
	s_cbranch_execnz .LBB52_15
.LBB52_14:                              ;   in Loop: Header=BB52_11 Depth=1
	v_add_u32_e32 v10, v12, v0
	v_mad_u64_u32 v[10:11], s[26:27], v10, s33, v[9:10]
.LBB52_15:                              ;   in Loop: Header=BB52_11 Depth=1
	v_ashrrev_i32_e32 v11, 31, v10
	v_lshlrev_b64 v[10:11], 3, v[10:11]
	v_mov_b32_e32 v12, s19
	v_add_co_u32_e32 v10, vcc, s18, v10
	v_addc_co_u32_e32 v11, vcc, v12, v11, vcc
	global_load_dwordx2 v[11:12], v[10:11], off
.LBB52_16:                              ;   in Loop: Header=BB52_11 Depth=1
	s_or_b64 exec, exec, s[6:7]
	s_waitcnt vmcnt(0)
	v_subrev_u32_e32 v10, s8, v8
	v_cmp_gt_i32_e32 vcc, v10, v1
	ds_write_b64 v20, v[11:12]
	s_and_saveexec_b64 s[26:27], vcc
	s_cbranch_execz .LBB52_10
; %bb.17:                               ;   in Loop: Header=BB52_11 Depth=1
	v_ashrrev_i32_e32 v11, 31, v10
	v_lshlrev_b64 v[11:12], 2, v[10:11]
	v_mov_b32_e32 v8, s15
	v_add_co_u32_e64 v11, s[6:7], s14, v11
	v_addc_co_u32_e64 v12, s[6:7], v8, v12, s[6:7]
	global_load_dword v8, v[11:12], off glc
	s_waitcnt vmcnt(0)
	v_cmp_eq_u32_e64 s[6:7], 0, v8
	s_and_saveexec_b64 s[28:29], s[6:7]
	s_cbranch_execz .LBB52_20
; %bb.18:                               ;   in Loop: Header=BB52_11 Depth=1
	s_mov_b64 s[30:31], 0
.LBB52_19:                              ;   Parent Loop BB52_11 Depth=1
                                        ; =>  This Inner Loop Header: Depth=2
	global_load_dword v8, v[11:12], off glc
	s_waitcnt vmcnt(0)
	v_cmp_ne_u32_e64 s[6:7], 0, v8
	s_or_b64 s[30:31], s[6:7], s[30:31]
	s_andn2_b64 exec, exec, s[30:31]
	s_cbranch_execnz .LBB52_19
.LBB52_20:                              ;   in Loop: Header=BB52_11 Depth=1
	s_or_b64 exec, exec, s[28:29]
	s_waitcnt lgkmcnt(0)
	buffer_wbinvl1_vol
	s_and_saveexec_b64 s[28:29], s[2:3]
	s_cbranch_execz .LBB52_24
; %bb.21:                               ;   in Loop: Header=BB52_11 Depth=1
	v_mov_b32_e32 v12, 0
	v_mov_b32_e32 v11, 0
	s_and_saveexec_b64 s[30:31], s[0:1]
	s_cbranch_execz .LBB52_23
; %bb.22:                               ;   in Loop: Header=BB52_11 Depth=1
	v_mad_u64_u32 v[11:12], s[6:7], v10, s33, v[4:5]
	v_mov_b32_e32 v8, s13
	v_ashrrev_i32_e32 v12, 31, v11
	v_lshlrev_b64 v[11:12], 3, v[11:12]
	v_add_co_u32_e64 v11, s[6:7], s12, v11
	v_addc_co_u32_e64 v12, s[6:7], v8, v12, s[6:7]
	global_load_dwordx2 v[11:12], v[11:12], off
.LBB52_23:                              ;   in Loop: Header=BB52_11 Depth=1
	s_or_b64 exec, exec, s[30:31]
	s_waitcnt vmcnt(0)
	ds_write_b64 v17, v[11:12]
.LBB52_24:                              ;   in Loop: Header=BB52_11 Depth=1
	s_or_b64 exec, exec, s[28:29]
	s_waitcnt lgkmcnt(0)
	s_and_saveexec_b64 s[6:7], s[0:1]
	s_cbranch_execz .LBB52_9
; %bb.25:                               ;   in Loop: Header=BB52_11 Depth=1
	ds_read2_b64 v[21:24], v18 offset1:8
	ds_read_b128 v[25:28], v16
	ds_read_b128 v[29:32], v16 offset:16
	ds_read2_b64 v[33:36], v18 offset0:16 offset1:24
	s_waitcnt lgkmcnt(2)
	v_fma_f32 v5, -v21, v25, v5
	v_fma_f32 v6, -v22, v25, v6
	v_fmac_f32_e32 v5, v22, v26
	v_fma_f32 v6, -v21, v26, v6
	v_fma_f32 v5, -v23, v27, v5
	v_fma_f32 v6, -v24, v27, v6
	v_fmac_f32_e32 v5, v24, v28
	v_fma_f32 v6, -v23, v28, v6
	ds_read_b128 v[21:24], v16 offset:32
	ds_read2_b64 v[25:28], v18 offset0:32 offset1:40
	s_waitcnt lgkmcnt(2)
	v_fma_f32 v5, -v33, v29, v5
	v_fma_f32 v6, -v34, v29, v6
	v_fmac_f32_e32 v5, v34, v30
	v_fma_f32 v6, -v33, v30, v6
	v_fma_f32 v5, -v35, v31, v5
	v_fma_f32 v6, -v36, v31, v6
	v_fmac_f32_e32 v5, v36, v32
	v_fma_f32 v6, -v35, v32, v6
	;; [unrolled: 11-line block ×3, first 2 shown]
	s_waitcnt lgkmcnt(0)
	v_fma_f32 v5, -v33, v29, v5
	v_fma_f32 v6, -v34, v29, v6
	v_fmac_f32_e32 v5, v34, v30
	v_fma_f32 v6, -v33, v30, v6
	v_fma_f32 v5, -v35, v31, v5
	;; [unrolled: 1-line block ×3, first 2 shown]
	v_fmac_f32_e32 v5, v36, v32
	v_fma_f32 v6, -v35, v32, v6
	s_branch .LBB52_9
.LBB52_26:                              ;   in Loop: Header=BB52_11 Depth=1
                                        ; implicit-def: $vgpr10
	s_branch .LBB52_14
.LBB52_27:
	s_or_b64 exec, exec, s[24:25]
.LBB52_28:
	s_or_b64 exec, exec, s[22:23]
	s_cmp_gt_i32 s33, 0
	v_cmp_eq_u32_e32 vcc, v10, v1
	s_cselect_b64 s[2:3], -1, 0
	s_and_b64 s[4:5], s[2:3], vcc
	s_mov_b64 s[2:3], 0
	s_and_saveexec_b64 s[6:7], s[4:5]
	s_cbranch_execnz .LBB52_32
; %bb.29:
	s_or_b64 exec, exec, s[6:7]
	s_and_saveexec_b64 s[4:5], s[0:1]
	s_cbranch_execnz .LBB52_46
.LBB52_30:
	s_or_b64 exec, exec, s[4:5]
	v_cmp_eq_u32_e32 vcc, 0, v4
	s_and_b64 exec, exec, vcc
	s_cbranch_execnz .LBB52_47
.LBB52_31:
	s_endpgm
.LBB52_32:
	v_lshlrev_b32_e32 v7, 9, v13
	v_lshl_add_u32 v8, s33, 6, v7
	s_movk_i32 s4, 0xffc0
	s_cmp_eq_u32 s9, 0
	v_add3_u32 v9, v8, v14, s4
	s_mul_i32 s4, s33, 0x48
	s_cselect_b64 s[2:3], -1, 0
	v_mbcnt_lo_u32_b32 v0, -1, 0
	v_add_u32_e32 v7, s4, v7
	v_mbcnt_hi_u32_b32 v0, -1, v0
	v_add_u32_e32 v10, 0xffffffb8, v7
	v_cndmask_b32_e64 v7, 0, 1, s[2:3]
	v_and_b32_e32 v0, 64, v0
	s_add_i32 s9, s33, -1
	s_mov_b64 s[16:17], 0
	v_cmp_ne_u32_e64 s[2:3], 1, v7
                                        ; implicit-def: $sgpr10_sgpr11
	s_and_b64 vcc, exec, s[2:3]
	s_cbranch_vccz .LBB52_34
.LBB52_33:
	v_mov_b32_e32 v7, 1.0
	v_mov_b32_e32 v8, 0
	s_branch .LBB52_35
.LBB52_34:
	ds_read_b64 v[7:8], v10
.LBB52_35:
	v_and_or_b32 v11, s9, 63, v0
	v_lshlrev_b32_e32 v11, 2, v11
	ds_bpermute_b32 v12, v11, v5
	ds_bpermute_b32 v11, v11, v6
	s_waitcnt lgkmcnt(0)
	v_cmp_neq_f32_e32 vcc, 0, v7
	v_cmp_neq_f32_e64 s[4:5], 0, v8
	s_or_b64 s[18:19], vcc, s[4:5]
	s_or_b64 s[10:11], s[10:11], exec
	s_and_saveexec_b64 s[4:5], s[18:19]
	s_cbranch_execz .LBB52_37
; %bb.36:
	v_mul_f32_e32 v13, v8, v8
	v_fmac_f32_e32 v13, v7, v7
	v_div_scale_f32 v14, s[18:19], v13, v13, 1.0
	v_div_scale_f32 v15, vcc, 1.0, v13, 1.0
	s_andn2_b64 s[10:11], s[10:11], exec
	s_and_b64 s[16:17], s[16:17], exec
	s_or_b64 s[10:11], s[10:11], s[16:17]
	v_rcp_f32_e32 v16, v14
	v_fma_f32 v17, -v14, v16, 1.0
	v_fmac_f32_e32 v16, v17, v16
	v_mul_f32_e32 v17, v15, v16
	v_fma_f32 v18, -v14, v17, v15
	v_fmac_f32_e32 v17, v18, v16
	v_fma_f32 v14, -v14, v17, v15
	v_div_fmas_f32 v14, v14, v16, v17
	v_mul_f32_e32 v15, v8, v11
	v_mul_f32_e64 v8, v8, -v12
	v_fmac_f32_e32 v15, v12, v7
	v_fmac_f32_e32 v8, v11, v7
	v_div_fixup_f32 v7, v14, v13, 1.0
	v_mul_f32_e32 v12, v7, v15
	v_mul_f32_e32 v11, v7, v8
.LBB52_37:
	s_or_b64 exec, exec, s[4:5]
	s_and_saveexec_b64 s[4:5], s[0:1]
	s_cbranch_execz .LBB52_43
; %bb.38:
	v_cmp_le_i32_e32 vcc, s9, v4
	s_and_saveexec_b64 s[16:17], vcc
	s_xor_b64 s[16:17], exec, s[16:17]
; %bb.39:
	v_cmp_eq_u32_e32 vcc, s9, v4
	v_cndmask_b32_e32 v5, v5, v12, vcc
	v_cndmask_b32_e32 v6, v6, v11, vcc
                                        ; implicit-def: $vgpr12
                                        ; implicit-def: $vgpr11
; %bb.40:
	s_andn2_saveexec_b64 s[16:17], s[16:17]
	s_cbranch_execz .LBB52_42
; %bb.41:
	ds_read_b64 v[7:8], v9
	s_waitcnt lgkmcnt(0)
	v_fma_f32 v5, -v12, v7, v5
	v_fma_f32 v6, -v11, v7, v6
	v_fmac_f32_e32 v5, v11, v8
	v_fma_f32 v6, -v12, v8, v6
.LBB52_42:
	s_or_b64 exec, exec, s[16:17]
.LBB52_43:
	s_or_b64 exec, exec, s[4:5]
	s_add_i32 s4, s9, -1
	s_add_i32 s5, s9, 1
	v_subrev_u32_e32 v9, 64, v9
	s_cmp_gt_u32 s5, 1
	v_add_u32_e32 v10, 0xffffffb8, v10
	s_cbranch_scc0 .LBB52_45
; %bb.44:
	s_mov_b64 s[16:17], s[10:11]
	s_mov_b32 s9, s4
	s_and_b64 vcc, exec, s[2:3]
	s_cbranch_vccnz .LBB52_33
	s_branch .LBB52_34
.LBB52_45:
	s_and_b64 s[2:3], s[10:11], exec
	s_or_b64 exec, exec, s[6:7]
	s_and_saveexec_b64 s[4:5], s[0:1]
	s_cbranch_execz .LBB52_30
.LBB52_46:
	v_mad_u64_u32 v[7:8], s[0:1], v1, s33, v[4:5]
	v_mov_b32_e32 v0, s13
	v_ashrrev_i32_e32 v8, 31, v7
	v_lshlrev_b64 v[7:8], 3, v[7:8]
	v_add_co_u32_e32 v7, vcc, s12, v7
	v_addc_co_u32_e32 v8, vcc, v0, v8, vcc
	global_store_dwordx2 v[7:8], v[5:6], off
	s_or_b64 exec, exec, s[4:5]
	v_cmp_eq_u32_e32 vcc, 0, v4
	s_and_b64 exec, exec, vcc
	s_cbranch_execz .LBB52_31
.LBB52_47:
	v_mov_b32_e32 v0, s15
	v_add_co_u32_e32 v2, vcc, s14, v2
	v_addc_co_u32_e32 v3, vcc, v0, v3, vcc
	v_mov_b32_e32 v0, 1
	s_waitcnt vmcnt(0) lgkmcnt(0)
	global_store_dword v[2:3], v0, off
	s_and_b64 exec, exec, s[2:3]
	s_cbranch_execz .LBB52_31
; %bb.48:
	s_mov_b64 s[0:1], exec
	v_add_u32_e32 v0, s8, v1
	s_brev_b32 s2, -2
.LBB52_49:                              ; =>This Inner Loop Header: Depth=1
	s_ff1_i32_b64 s3, s[0:1]
	v_readlane_b32 s6, v0, s3
	s_lshl_b64 s[4:5], 1, s3
	s_min_i32 s2, s2, s6
	s_andn2_b64 s[0:1], s[0:1], s[4:5]
	s_cmp_lg_u64 s[0:1], 0
	s_cbranch_scc1 .LBB52_49
; %bb.50:
	v_mbcnt_lo_u32_b32 v0, exec_lo, 0
	v_mbcnt_hi_u32_b32 v0, exec_hi, v0
	v_cmp_eq_u32_e32 vcc, 0, v0
	s_and_saveexec_b64 s[0:1], vcc
	s_xor_b64 s[0:1], exec, s[0:1]
	s_cbranch_execz .LBB52_31
; %bb.51:
	v_mov_b32_e32 v0, 0
	v_mov_b32_e32 v1, s2
	global_atomic_smin v0, v1, s[20:21]
	s_endpgm
	.section	.rodata,"a",@progbits
	.p2align	6, 0x0
	.amdhsa_kernel _ZN9rocsparseL18bsrsv_upper_sharedILj128ELj64ELi8ELb0E21rocsparse_complex_numIfEEEviNS_24const_host_device_scalarIT3_EEPKiS7_PKS4_iS9_PS4_PiSB_SB_21rocsparse_index_base_20rocsparse_diag_type_20rocsparse_direction_b
		.amdhsa_group_segment_fixed_size 1152
		.amdhsa_private_segment_fixed_size 0
		.amdhsa_kernarg_size 104
		.amdhsa_user_sgpr_count 6
		.amdhsa_user_sgpr_private_segment_buffer 1
		.amdhsa_user_sgpr_dispatch_ptr 0
		.amdhsa_user_sgpr_queue_ptr 0
		.amdhsa_user_sgpr_kernarg_segment_ptr 1
		.amdhsa_user_sgpr_dispatch_id 0
		.amdhsa_user_sgpr_flat_scratch_init 0
		.amdhsa_user_sgpr_private_segment_size 0
		.amdhsa_uses_dynamic_stack 0
		.amdhsa_system_sgpr_private_segment_wavefront_offset 0
		.amdhsa_system_sgpr_workgroup_id_x 1
		.amdhsa_system_sgpr_workgroup_id_y 0
		.amdhsa_system_sgpr_workgroup_id_z 0
		.amdhsa_system_sgpr_workgroup_info 0
		.amdhsa_system_vgpr_workitem_id 0
		.amdhsa_next_free_vgpr 37
		.amdhsa_next_free_sgpr 34
		.amdhsa_reserve_vcc 1
		.amdhsa_reserve_flat_scratch 0
		.amdhsa_float_round_mode_32 0
		.amdhsa_float_round_mode_16_64 0
		.amdhsa_float_denorm_mode_32 3
		.amdhsa_float_denorm_mode_16_64 3
		.amdhsa_dx10_clamp 1
		.amdhsa_ieee_mode 1
		.amdhsa_fp16_overflow 0
		.amdhsa_exception_fp_ieee_invalid_op 0
		.amdhsa_exception_fp_denorm_src 0
		.amdhsa_exception_fp_ieee_div_zero 0
		.amdhsa_exception_fp_ieee_overflow 0
		.amdhsa_exception_fp_ieee_underflow 0
		.amdhsa_exception_fp_ieee_inexact 0
		.amdhsa_exception_int_div_zero 0
	.end_amdhsa_kernel
	.section	.text._ZN9rocsparseL18bsrsv_upper_sharedILj128ELj64ELi8ELb0E21rocsparse_complex_numIfEEEviNS_24const_host_device_scalarIT3_EEPKiS7_PKS4_iS9_PS4_PiSB_SB_21rocsparse_index_base_20rocsparse_diag_type_20rocsparse_direction_b,"axG",@progbits,_ZN9rocsparseL18bsrsv_upper_sharedILj128ELj64ELi8ELb0E21rocsparse_complex_numIfEEEviNS_24const_host_device_scalarIT3_EEPKiS7_PKS4_iS9_PS4_PiSB_SB_21rocsparse_index_base_20rocsparse_diag_type_20rocsparse_direction_b,comdat
.Lfunc_end52:
	.size	_ZN9rocsparseL18bsrsv_upper_sharedILj128ELj64ELi8ELb0E21rocsparse_complex_numIfEEEviNS_24const_host_device_scalarIT3_EEPKiS7_PKS4_iS9_PS4_PiSB_SB_21rocsparse_index_base_20rocsparse_diag_type_20rocsparse_direction_b, .Lfunc_end52-_ZN9rocsparseL18bsrsv_upper_sharedILj128ELj64ELi8ELb0E21rocsparse_complex_numIfEEEviNS_24const_host_device_scalarIT3_EEPKiS7_PKS4_iS9_PS4_PiSB_SB_21rocsparse_index_base_20rocsparse_diag_type_20rocsparse_direction_b
                                        ; -- End function
	.set _ZN9rocsparseL18bsrsv_upper_sharedILj128ELj64ELi8ELb0E21rocsparse_complex_numIfEEEviNS_24const_host_device_scalarIT3_EEPKiS7_PKS4_iS9_PS4_PiSB_SB_21rocsparse_index_base_20rocsparse_diag_type_20rocsparse_direction_b.num_vgpr, 37
	.set _ZN9rocsparseL18bsrsv_upper_sharedILj128ELj64ELi8ELb0E21rocsparse_complex_numIfEEEviNS_24const_host_device_scalarIT3_EEPKiS7_PKS4_iS9_PS4_PiSB_SB_21rocsparse_index_base_20rocsparse_diag_type_20rocsparse_direction_b.num_agpr, 0
	.set _ZN9rocsparseL18bsrsv_upper_sharedILj128ELj64ELi8ELb0E21rocsparse_complex_numIfEEEviNS_24const_host_device_scalarIT3_EEPKiS7_PKS4_iS9_PS4_PiSB_SB_21rocsparse_index_base_20rocsparse_diag_type_20rocsparse_direction_b.numbered_sgpr, 34
	.set _ZN9rocsparseL18bsrsv_upper_sharedILj128ELj64ELi8ELb0E21rocsparse_complex_numIfEEEviNS_24const_host_device_scalarIT3_EEPKiS7_PKS4_iS9_PS4_PiSB_SB_21rocsparse_index_base_20rocsparse_diag_type_20rocsparse_direction_b.num_named_barrier, 0
	.set _ZN9rocsparseL18bsrsv_upper_sharedILj128ELj64ELi8ELb0E21rocsparse_complex_numIfEEEviNS_24const_host_device_scalarIT3_EEPKiS7_PKS4_iS9_PS4_PiSB_SB_21rocsparse_index_base_20rocsparse_diag_type_20rocsparse_direction_b.private_seg_size, 0
	.set _ZN9rocsparseL18bsrsv_upper_sharedILj128ELj64ELi8ELb0E21rocsparse_complex_numIfEEEviNS_24const_host_device_scalarIT3_EEPKiS7_PKS4_iS9_PS4_PiSB_SB_21rocsparse_index_base_20rocsparse_diag_type_20rocsparse_direction_b.uses_vcc, 1
	.set _ZN9rocsparseL18bsrsv_upper_sharedILj128ELj64ELi8ELb0E21rocsparse_complex_numIfEEEviNS_24const_host_device_scalarIT3_EEPKiS7_PKS4_iS9_PS4_PiSB_SB_21rocsparse_index_base_20rocsparse_diag_type_20rocsparse_direction_b.uses_flat_scratch, 0
	.set _ZN9rocsparseL18bsrsv_upper_sharedILj128ELj64ELi8ELb0E21rocsparse_complex_numIfEEEviNS_24const_host_device_scalarIT3_EEPKiS7_PKS4_iS9_PS4_PiSB_SB_21rocsparse_index_base_20rocsparse_diag_type_20rocsparse_direction_b.has_dyn_sized_stack, 0
	.set _ZN9rocsparseL18bsrsv_upper_sharedILj128ELj64ELi8ELb0E21rocsparse_complex_numIfEEEviNS_24const_host_device_scalarIT3_EEPKiS7_PKS4_iS9_PS4_PiSB_SB_21rocsparse_index_base_20rocsparse_diag_type_20rocsparse_direction_b.has_recursion, 0
	.set _ZN9rocsparseL18bsrsv_upper_sharedILj128ELj64ELi8ELb0E21rocsparse_complex_numIfEEEviNS_24const_host_device_scalarIT3_EEPKiS7_PKS4_iS9_PS4_PiSB_SB_21rocsparse_index_base_20rocsparse_diag_type_20rocsparse_direction_b.has_indirect_call, 0
	.section	.AMDGPU.csdata,"",@progbits
; Kernel info:
; codeLenInByte = 1896
; TotalNumSgprs: 38
; NumVgprs: 37
; ScratchSize: 0
; MemoryBound: 0
; FloatMode: 240
; IeeeMode: 1
; LDSByteSize: 1152 bytes/workgroup (compile time only)
; SGPRBlocks: 4
; VGPRBlocks: 9
; NumSGPRsForWavesPerEU: 38
; NumVGPRsForWavesPerEU: 37
; Occupancy: 6
; WaveLimiterHint : 1
; COMPUTE_PGM_RSRC2:SCRATCH_EN: 0
; COMPUTE_PGM_RSRC2:USER_SGPR: 6
; COMPUTE_PGM_RSRC2:TRAP_HANDLER: 0
; COMPUTE_PGM_RSRC2:TGID_X_EN: 1
; COMPUTE_PGM_RSRC2:TGID_Y_EN: 0
; COMPUTE_PGM_RSRC2:TGID_Z_EN: 0
; COMPUTE_PGM_RSRC2:TIDIG_COMP_CNT: 0
	.section	.text._ZN9rocsparseL18bsrsv_lower_sharedILj128ELj64ELi16ELb1E21rocsparse_complex_numIfEEEviNS_24const_host_device_scalarIT3_EEPKiS7_PKS4_iS9_PS4_PiSB_SB_21rocsparse_index_base_20rocsparse_diag_type_20rocsparse_direction_b,"axG",@progbits,_ZN9rocsparseL18bsrsv_lower_sharedILj128ELj64ELi16ELb1E21rocsparse_complex_numIfEEEviNS_24const_host_device_scalarIT3_EEPKiS7_PKS4_iS9_PS4_PiSB_SB_21rocsparse_index_base_20rocsparse_diag_type_20rocsparse_direction_b,comdat
	.globl	_ZN9rocsparseL18bsrsv_lower_sharedILj128ELj64ELi16ELb1E21rocsparse_complex_numIfEEEviNS_24const_host_device_scalarIT3_EEPKiS7_PKS4_iS9_PS4_PiSB_SB_21rocsparse_index_base_20rocsparse_diag_type_20rocsparse_direction_b ; -- Begin function _ZN9rocsparseL18bsrsv_lower_sharedILj128ELj64ELi16ELb1E21rocsparse_complex_numIfEEEviNS_24const_host_device_scalarIT3_EEPKiS7_PKS4_iS9_PS4_PiSB_SB_21rocsparse_index_base_20rocsparse_diag_type_20rocsparse_direction_b
	.p2align	8
	.type	_ZN9rocsparseL18bsrsv_lower_sharedILj128ELj64ELi16ELb1E21rocsparse_complex_numIfEEEviNS_24const_host_device_scalarIT3_EEPKiS7_PKS4_iS9_PS4_PiSB_SB_21rocsparse_index_base_20rocsparse_diag_type_20rocsparse_direction_b,@function
_ZN9rocsparseL18bsrsv_lower_sharedILj128ELj64ELi16ELb1E21rocsparse_complex_numIfEEEviNS_24const_host_device_scalarIT3_EEPKiS7_PKS4_iS9_PS4_PiSB_SB_21rocsparse_index_base_20rocsparse_diag_type_20rocsparse_direction_b: ; @_ZN9rocsparseL18bsrsv_lower_sharedILj128ELj64ELi16ELb1E21rocsparse_complex_numIfEEEviNS_24const_host_device_scalarIT3_EEPKiS7_PKS4_iS9_PS4_PiSB_SB_21rocsparse_index_base_20rocsparse_diag_type_20rocsparse_direction_b
; %bb.0:
	s_load_dwordx4 s[8:11], s[4:5], 0x58
	s_load_dwordx2 s[2:3], s[4:5], 0x8
	s_waitcnt lgkmcnt(0)
	s_bitcmp1_b32 s11, 0
	s_cselect_b64 s[12:13], -1, 0
	s_xor_b64 s[0:1], s[12:13], -1
	s_and_b64 vcc, exec, s[12:13]
	s_mov_b32 s11, s2
	s_cbranch_vccnz .LBB53_2
; %bb.1:
	s_load_dword s11, s[2:3], 0x0
.LBB53_2:
	s_andn2_b64 vcc, exec, s[0:1]
	s_cbranch_vccnz .LBB53_4
; %bb.3:
	s_load_dword s3, s[2:3], 0x4
.LBB53_4:
	s_nop 0
	s_load_dword s2, s[4:5], 0x0
	s_lshl_b32 s0, s6, 1
	v_lshrrev_b32_e32 v12, 6, v0
	s_and_b32 s0, s0, 0x3fffffe
	v_or_b32_e32 v1, s0, v12
	s_waitcnt lgkmcnt(0)
	v_cmp_gt_i32_e32 vcc, s2, v1
	s_and_saveexec_b64 s[0:1], vcc
	s_cbranch_execz .LBB53_35
; %bb.5:
	s_load_dwordx2 s[0:1], s[4:5], 0x48
	s_load_dwordx4 s[12:15], s[4:5], 0x38
	v_lshlrev_b32_e32 v1, 2, v1
	v_mov_b32_e32 v7, 0
	v_mov_b32_e32 v8, 0
	s_waitcnt lgkmcnt(0)
	global_load_dword v1, v1, s[0:1]
	s_load_dwordx2 s[0:1], s[4:5], 0x10
	s_load_dword s33, s[4:5], 0x28
	s_waitcnt lgkmcnt(0)
	v_mov_b32_e32 v5, s1
	s_waitcnt vmcnt(0)
	v_ashrrev_i32_e32 v2, 31, v1
	v_lshlrev_b64 v[2:3], 2, v[1:2]
	v_add_co_u32_e32 v4, vcc, s0, v2
	v_addc_co_u32_e32 v5, vcc, v5, v3, vcc
	global_load_dwordx2 v[9:10], v[4:5], off
	v_and_b32_e32 v4, 63, v0
	v_cmp_gt_i32_e64 s[0:1], s33, v4
	s_and_saveexec_b64 s[6:7], s[0:1]
	s_cbranch_execz .LBB53_7
; %bb.6:
	v_mad_u64_u32 v[5:6], s[16:17], v1, s33, v[4:5]
	s_load_dwordx2 s[16:17], s[4:5], 0x30
	v_ashrrev_i32_e32 v6, 31, v5
	v_lshlrev_b64 v[5:6], 3, v[5:6]
	s_waitcnt lgkmcnt(0)
	v_mov_b32_e32 v7, s17
	v_add_co_u32_e32 v5, vcc, s16, v5
	v_addc_co_u32_e32 v6, vcc, v7, v6, vcc
	global_load_dwordx2 v[7:8], v[5:6], off
.LBB53_7:
	s_or_b64 exec, exec, s[6:7]
	s_load_dwordx2 s[20:21], s[4:5], 0x50
	s_waitcnt vmcnt(0)
	v_mul_f32_e64 v5, v8, -s3
	v_mul_f32_e32 v6, s11, v8
	v_fmac_f32_e32 v5, s11, v7
	v_fmac_f32_e32 v6, s3, v7
	v_lshlrev_b32_e32 v11, 11, v12
	v_cmp_lt_i32_e32 vcc, v9, v10
	v_mov_b32_e32 v8, s2
	s_and_saveexec_b64 s[22:23], vcc
	s_cbranch_execz .LBB53_32
; %bb.8:
	v_mov_b32_e32 v7, 0x1000
	v_lshl_or_b32 v12, v12, 7, v7
	v_subrev_u32_e32 v7, s8, v9
	v_and_b32_e32 v0, 15, v0
	v_mad_u64_u32 v[8:9], s[6:7], s33, v7, v[0:1]
	s_load_dwordx4 s[16:19], s[4:5], 0x18
	v_lshrrev_b32_e32 v14, 4, v4
	v_mul_lo_u32 v17, s33, v8
	v_lshlrev_b32_e32 v9, 3, v4
	s_cmp_lg_u32 s10, 0
	v_add_u32_e32 v15, v12, v9
	v_add_u32_e32 v16, v11, v9
	v_lshlrev_b32_e32 v8, 7, v14
	v_lshlrev_b32_e32 v9, 3, v0
	v_subrev_u32_e32 v13, s8, v10
	v_cmp_gt_i32_e64 s[2:3], s33, v0
	s_cselect_b64 s[10:11], -1, 0
	v_cmp_gt_u32_e64 s[4:5], 16, v4
	s_mul_i32 s34, s33, s33
	v_add3_u32 v18, v11, v8, v9
	s_mov_b64 s[24:25], 0
	s_waitcnt lgkmcnt(0)
	v_mov_b32_e32 v19, s17
	s_branch .LBB53_11
.LBB53_9:                               ;   in Loop: Header=BB53_11 Depth=1
	s_or_b64 exec, exec, s[6:7]
.LBB53_10:                              ;   in Loop: Header=BB53_11 Depth=1
	s_or_b64 exec, exec, s[26:27]
	v_add_u32_e32 v7, 1, v7
	v_cmp_ge_i32_e64 s[6:7], v7, v13
	s_xor_b64 s[26:27], vcc, -1
	s_or_b64 s[6:7], s[26:27], s[6:7]
	s_and_b64 s[6:7], exec, s[6:7]
	s_or_b64 s[24:25], s[6:7], s[24:25]
	v_add_u32_e32 v17, s34, v17
	s_andn2_b64 exec, exec, s[24:25]
	s_cbranch_execz .LBB53_31
.LBB53_11:                              ; =>This Loop Header: Depth=1
                                        ;     Child Loop BB53_14 Depth 2
                                        ;     Child Loop BB53_23 Depth 2
                                        ;       Child Loop BB53_24 Depth 3
	v_ashrrev_i32_e32 v8, 31, v7
	v_lshlrev_b64 v[8:9], 2, v[7:8]
	v_mul_lo_u32 v20, v7, s33
	v_add_co_u32_e32 v8, vcc, s16, v8
	v_addc_co_u32_e32 v9, vcc, v19, v9, vcc
	global_load_dword v10, v[8:9], off
	s_mov_b64 s[6:7], 0
	v_mov_b32_e32 v21, v18
	v_mov_b32_e32 v22, v14
	s_branch .LBB53_14
.LBB53_12:                              ;   in Loop: Header=BB53_14 Depth=2
	v_ashrrev_i32_e32 v9, 31, v8
	v_lshlrev_b64 v[8:9], 3, v[8:9]
	v_mov_b32_e32 v23, s19
	v_add_co_u32_e32 v8, vcc, s18, v8
	v_addc_co_u32_e32 v9, vcc, v23, v9, vcc
	global_load_dwordx2 v[8:9], v[8:9], off
.LBB53_13:                              ;   in Loop: Header=BB53_14 Depth=2
	s_or_b64 exec, exec, s[26:27]
	s_waitcnt vmcnt(0)
	ds_write_b64 v21, v[8:9]
	v_add_u32_e32 v8, 4, v22
	v_cmp_lt_u32_e32 vcc, 11, v22
	v_add_u32_e32 v21, 0x200, v21
	s_or_b64 s[6:7], vcc, s[6:7]
	v_mov_b32_e32 v22, v8
	s_andn2_b64 exec, exec, s[6:7]
	s_cbranch_execz .LBB53_19
.LBB53_14:                              ;   Parent Loop BB53_11 Depth=1
                                        ; =>  This Inner Loop Header: Depth=2
	v_cmp_gt_i32_e32 vcc, s33, v22
	s_and_b64 s[28:29], s[2:3], vcc
	v_mov_b32_e32 v8, 0
	v_mov_b32_e32 v9, 0
	s_and_saveexec_b64 s[26:27], s[28:29]
	s_cbranch_execz .LBB53_13
; %bb.15:                               ;   in Loop: Header=BB53_14 Depth=2
	s_and_b64 vcc, exec, s[10:11]
	s_cbranch_vccz .LBB53_17
; %bb.16:                               ;   in Loop: Header=BB53_14 Depth=2
	v_add_u32_e32 v8, v22, v20
	v_mad_u64_u32 v[8:9], s[28:29], v8, s33, v[0:1]
	s_cbranch_execnz .LBB53_12
	s_branch .LBB53_18
.LBB53_17:                              ;   in Loop: Header=BB53_14 Depth=2
                                        ; implicit-def: $vgpr8
.LBB53_18:                              ;   in Loop: Header=BB53_14 Depth=2
	v_add_u32_e32 v8, v17, v22
	s_branch .LBB53_12
.LBB53_19:                              ;   in Loop: Header=BB53_11 Depth=1
	s_or_b64 exec, exec, s[6:7]
	v_subrev_u32_e32 v8, s8, v10
	v_cmp_lt_i32_e32 vcc, v8, v1
	s_and_saveexec_b64 s[26:27], vcc
	s_cbranch_execz .LBB53_10
; %bb.20:                               ;   in Loop: Header=BB53_11 Depth=1
	v_ashrrev_i32_e32 v9, 31, v8
	v_lshlrev_b64 v[9:10], 2, v[8:9]
	v_mov_b32_e32 v20, s15
	v_add_co_u32_e64 v9, s[6:7], s14, v9
	v_addc_co_u32_e64 v10, s[6:7], v20, v10, s[6:7]
	global_load_dword v20, v[9:10], off glc
	s_waitcnt vmcnt(0)
	v_cmp_eq_u32_e64 s[6:7], 0, v20
	s_and_saveexec_b64 s[28:29], s[6:7]
	s_cbranch_execz .LBB53_25
; %bb.21:                               ;   in Loop: Header=BB53_11 Depth=1
	s_mov_b32 s17, 0
	s_mov_b64 s[30:31], 0
	s_branch .LBB53_23
.LBB53_22:                              ;   in Loop: Header=BB53_23 Depth=2
	global_load_dword v20, v[9:10], off glc
	s_cmpk_lt_u32 s17, 0xf43
	s_cselect_b64 s[6:7], -1, 0
	s_cmp_lg_u64 s[6:7], 0
	s_addc_u32 s17, s17, 0
	s_waitcnt vmcnt(0)
	v_cmp_ne_u32_e64 s[6:7], 0, v20
	s_or_b64 s[30:31], s[6:7], s[30:31]
	s_andn2_b64 exec, exec, s[30:31]
	s_cbranch_execz .LBB53_25
.LBB53_23:                              ;   Parent Loop BB53_11 Depth=1
                                        ; =>  This Loop Header: Depth=2
                                        ;       Child Loop BB53_24 Depth 3
	s_cmp_eq_u32 s17, 0
	s_mov_b32 s6, s17
	s_cbranch_scc1 .LBB53_22
.LBB53_24:                              ;   Parent Loop BB53_11 Depth=1
                                        ;     Parent Loop BB53_23 Depth=2
                                        ; =>    This Inner Loop Header: Depth=3
	s_add_i32 s6, s6, -1
	s_cmp_eq_u32 s6, 0
	s_sleep 1
	s_cbranch_scc0 .LBB53_24
	s_branch .LBB53_22
.LBB53_25:                              ;   in Loop: Header=BB53_11 Depth=1
	s_or_b64 exec, exec, s[28:29]
	s_waitcnt lgkmcnt(0)
	buffer_wbinvl1_vol
	s_and_saveexec_b64 s[28:29], s[4:5]
	s_cbranch_execz .LBB53_29
; %bb.26:                               ;   in Loop: Header=BB53_11 Depth=1
	v_mov_b32_e32 v10, 0
	v_mov_b32_e32 v9, 0
	s_and_saveexec_b64 s[30:31], s[0:1]
	s_cbranch_execz .LBB53_28
; %bb.27:                               ;   in Loop: Header=BB53_11 Depth=1
	v_mad_u64_u32 v[9:10], s[6:7], v8, s33, v[4:5]
	v_mov_b32_e32 v20, s13
	v_ashrrev_i32_e32 v10, 31, v9
	v_lshlrev_b64 v[9:10], 3, v[9:10]
	v_add_co_u32_e64 v9, s[6:7], s12, v9
	v_addc_co_u32_e64 v10, s[6:7], v20, v10, s[6:7]
	global_load_dwordx2 v[9:10], v[9:10], off
.LBB53_28:                              ;   in Loop: Header=BB53_11 Depth=1
	s_or_b64 exec, exec, s[30:31]
	s_waitcnt vmcnt(0)
	ds_write_b64 v15, v[9:10]
.LBB53_29:                              ;   in Loop: Header=BB53_11 Depth=1
	s_or_b64 exec, exec, s[28:29]
	s_waitcnt lgkmcnt(0)
	s_and_saveexec_b64 s[6:7], s[0:1]
	s_cbranch_execz .LBB53_9
; %bb.30:                               ;   in Loop: Header=BB53_11 Depth=1
	ds_read2_b64 v[20:23], v16 offset1:16
	ds_read_b128 v[24:27], v12
	ds_read_b128 v[28:31], v12 offset:16
	ds_read_b128 v[32:35], v12 offset:32
	;; [unrolled: 1-line block ×3, first 2 shown]
	ds_read2_b64 v[40:43], v16 offset0:32 offset1:48
	s_waitcnt lgkmcnt(4)
	v_fma_f32 v5, -v20, v24, v5
	v_fma_f32 v6, -v21, v24, v6
	v_fmac_f32_e32 v5, v21, v25
	v_fma_f32 v6, -v20, v25, v6
	v_fma_f32 v5, -v22, v26, v5
	v_fma_f32 v6, -v23, v26, v6
	v_fmac_f32_e32 v5, v23, v27
	v_fma_f32 v6, -v22, v27, v6
	ds_read2_b64 v[20:23], v16 offset0:64 offset1:80
	s_waitcnt lgkmcnt(1)
	v_fma_f32 v5, -v40, v28, v5
	v_fma_f32 v6, -v41, v28, v6
	v_fmac_f32_e32 v5, v41, v29
	v_fma_f32 v6, -v40, v29, v6
	v_fma_f32 v5, -v42, v30, v5
	v_fma_f32 v6, -v43, v30, v6
	v_fmac_f32_e32 v5, v43, v31
	v_fma_f32 v6, -v42, v31, v6
	;; [unrolled: 10-line block ×3, first 2 shown]
	ds_read2_b64 v[20:23], v16 offset0:128 offset1:144
	ds_read_b128 v[28:31], v12 offset:64
	s_waitcnt lgkmcnt(2)
	v_fma_f32 v5, -v24, v36, v5
	v_fma_f32 v6, -v25, v36, v6
	v_fmac_f32_e32 v5, v25, v37
	v_fma_f32 v6, -v24, v37, v6
	v_fma_f32 v5, -v26, v38, v5
	v_fma_f32 v6, -v27, v38, v6
	v_fmac_f32_e32 v5, v27, v39
	v_fma_f32 v6, -v26, v39, v6
	ds_read_b128 v[24:27], v12 offset:80
	ds_read2_b64 v[32:35], v16 offset0:160 offset1:176
	s_waitcnt lgkmcnt(2)
	v_fma_f32 v5, -v20, v28, v5
	v_fma_f32 v6, -v21, v28, v6
	v_fmac_f32_e32 v5, v21, v29
	v_fma_f32 v6, -v20, v29, v6
	v_fma_f32 v5, -v22, v30, v5
	;; [unrolled: 1-line block ×3, first 2 shown]
	v_fmac_f32_e32 v5, v23, v31
	v_fma_f32 v6, -v22, v31, v6
	ds_read2_b64 v[20:23], v16 offset0:192 offset1:208
	ds_read_b128 v[28:31], v12 offset:96
	s_waitcnt lgkmcnt(2)
	v_fma_f32 v5, -v32, v24, v5
	v_fma_f32 v6, -v33, v24, v6
	v_fmac_f32_e32 v5, v33, v25
	v_fma_f32 v6, -v32, v25, v6
	v_fma_f32 v5, -v34, v26, v5
	;; [unrolled: 1-line block ×3, first 2 shown]
	v_fmac_f32_e32 v5, v35, v27
	v_fma_f32 v6, -v34, v27, v6
	ds_read_b128 v[24:27], v12 offset:112
	ds_read2_b64 v[32:35], v16 offset0:224 offset1:240
	s_waitcnt lgkmcnt(2)
	v_fma_f32 v5, -v20, v28, v5
	v_fma_f32 v6, -v21, v28, v6
	v_fmac_f32_e32 v5, v21, v29
	v_fma_f32 v6, -v20, v29, v6
	v_fma_f32 v5, -v22, v30, v5
	v_fma_f32 v6, -v23, v30, v6
	v_fmac_f32_e32 v5, v23, v31
	v_fma_f32 v6, -v22, v31, v6
	s_waitcnt lgkmcnt(0)
	v_fma_f32 v5, -v32, v24, v5
	v_fma_f32 v6, -v33, v24, v6
	v_fmac_f32_e32 v5, v33, v25
	v_fma_f32 v6, -v32, v25, v6
	v_fma_f32 v5, -v34, v26, v5
	;; [unrolled: 1-line block ×3, first 2 shown]
	v_fmac_f32_e32 v5, v35, v27
	v_fma_f32 v6, -v34, v27, v6
	s_branch .LBB53_9
.LBB53_31:
	s_or_b64 exec, exec, s[24:25]
.LBB53_32:
	s_or_b64 exec, exec, s[22:23]
	s_cmp_gt_i32 s33, 0
	v_cmp_eq_u32_e32 vcc, v8, v1
	s_cselect_b64 s[2:3], -1, 0
	s_mov_b32 s18, 0
	s_and_b64 s[4:5], s[2:3], vcc
	s_mov_b64 s[2:3], 0
	s_and_saveexec_b64 s[6:7], s[4:5]
	s_cbranch_execnz .LBB53_36
; %bb.33:
	s_or_b64 exec, exec, s[6:7]
	s_and_saveexec_b64 s[4:5], s[0:1]
	s_cbranch_execnz .LBB53_50
.LBB53_34:
	s_or_b64 exec, exec, s[4:5]
	v_cmp_eq_u32_e32 vcc, 0, v4
	s_and_b64 exec, exec, vcc
	s_cbranch_execnz .LBB53_51
.LBB53_35:
	s_endpgm
.LBB53_36:
	s_cmp_eq_u32 s9, 0
	v_mbcnt_lo_u32_b32 v0, -1, 0
	s_cselect_b64 s[2:3], -1, 0
	v_mbcnt_hi_u32_b32 v0, -1, v0
	v_cndmask_b32_e64 v7, 0, 1, s[2:3]
	v_and_b32_e32 v0, 64, v0
	v_lshl_add_u32 v9, v4, 3, v11
	s_mov_b64 s[16:17], 0
	v_cmp_ne_u32_e64 s[2:3], 1, v7
                                        ; implicit-def: $sgpr10_sgpr11
	s_and_b64 vcc, exec, s[2:3]
	s_cbranch_vccz .LBB53_38
.LBB53_37:
	v_mov_b32_e32 v7, 1.0
	v_mov_b32_e32 v8, 0
	s_branch .LBB53_39
.LBB53_38:
	ds_read_b64 v[7:8], v11
.LBB53_39:
	v_and_or_b32 v10, s18, 63, v0
	v_lshlrev_b32_e32 v10, 2, v10
	ds_bpermute_b32 v12, v10, v5
	ds_bpermute_b32 v10, v10, v6
	s_waitcnt lgkmcnt(0)
	v_cmp_neq_f32_e32 vcc, 0, v7
	v_cmp_neq_f32_e64 s[4:5], 0, v8
	s_or_b64 s[22:23], vcc, s[4:5]
	s_or_b64 s[10:11], s[10:11], exec
	s_and_saveexec_b64 s[4:5], s[22:23]
	s_cbranch_execz .LBB53_41
; %bb.40:
	v_mul_f32_e32 v13, v8, v8
	v_fmac_f32_e32 v13, v7, v7
	v_div_scale_f32 v14, s[22:23], v13, v13, 1.0
	v_div_scale_f32 v15, vcc, 1.0, v13, 1.0
	s_andn2_b64 s[10:11], s[10:11], exec
	s_and_b64 s[16:17], s[16:17], exec
	s_or_b64 s[10:11], s[10:11], s[16:17]
	v_rcp_f32_e32 v16, v14
	v_fma_f32 v17, -v14, v16, 1.0
	v_fmac_f32_e32 v16, v17, v16
	v_mul_f32_e32 v17, v15, v16
	v_fma_f32 v18, -v14, v17, v15
	v_fmac_f32_e32 v17, v18, v16
	v_fma_f32 v14, -v14, v17, v15
	v_div_fmas_f32 v14, v14, v16, v17
	v_mul_f32_e32 v15, v8, v10
	v_mul_f32_e64 v8, v8, -v12
	v_fmac_f32_e32 v15, v12, v7
	v_fmac_f32_e32 v8, v10, v7
	v_div_fixup_f32 v7, v14, v13, 1.0
	v_mul_f32_e32 v12, v7, v15
	v_mul_f32_e32 v10, v7, v8
.LBB53_41:
	s_or_b64 exec, exec, s[4:5]
	s_and_saveexec_b64 s[4:5], s[0:1]
	s_cbranch_execz .LBB53_47
; %bb.42:
	v_cmp_ge_u32_e32 vcc, s18, v4
	s_and_saveexec_b64 s[16:17], vcc
	s_xor_b64 s[16:17], exec, s[16:17]
; %bb.43:
	v_cmp_eq_u32_e32 vcc, s18, v4
	v_cndmask_b32_e32 v5, v5, v12, vcc
	v_cndmask_b32_e32 v6, v6, v10, vcc
                                        ; implicit-def: $vgpr12
                                        ; implicit-def: $vgpr10
; %bb.44:
	s_andn2_saveexec_b64 s[16:17], s[16:17]
	s_cbranch_execz .LBB53_46
; %bb.45:
	ds_read_b64 v[7:8], v9
	s_waitcnt lgkmcnt(0)
	v_fma_f32 v5, -v12, v7, v5
	v_fma_f32 v6, -v10, v7, v6
	v_fmac_f32_e32 v5, v10, v8
	v_fma_f32 v6, -v12, v8, v6
.LBB53_46:
	s_or_b64 exec, exec, s[16:17]
.LBB53_47:
	s_or_b64 exec, exec, s[4:5]
	s_add_i32 s18, s18, 1
	v_add_u32_e32 v9, 0x80, v9
	s_cmp_lg_u32 s33, s18
	v_add_u32_e32 v11, 0x88, v11
	s_cbranch_scc0 .LBB53_49
; %bb.48:
	s_mov_b64 s[16:17], s[10:11]
	s_and_b64 vcc, exec, s[2:3]
	s_cbranch_vccnz .LBB53_37
	s_branch .LBB53_38
.LBB53_49:
	s_and_b64 s[2:3], s[10:11], exec
	s_or_b64 exec, exec, s[6:7]
	s_and_saveexec_b64 s[4:5], s[0:1]
	s_cbranch_execz .LBB53_34
.LBB53_50:
	v_mad_u64_u32 v[7:8], s[0:1], v1, s33, v[4:5]
	v_mov_b32_e32 v0, s13
	v_ashrrev_i32_e32 v8, 31, v7
	v_lshlrev_b64 v[7:8], 3, v[7:8]
	v_add_co_u32_e32 v7, vcc, s12, v7
	v_addc_co_u32_e32 v8, vcc, v0, v8, vcc
	global_store_dwordx2 v[7:8], v[5:6], off
	s_or_b64 exec, exec, s[4:5]
	v_cmp_eq_u32_e32 vcc, 0, v4
	s_and_b64 exec, exec, vcc
	s_cbranch_execz .LBB53_35
.LBB53_51:
	v_mov_b32_e32 v0, s15
	v_add_co_u32_e32 v2, vcc, s14, v2
	v_addc_co_u32_e32 v3, vcc, v0, v3, vcc
	v_mov_b32_e32 v0, 1
	s_waitcnt vmcnt(0) lgkmcnt(0)
	global_store_dword v[2:3], v0, off
	s_and_b64 exec, exec, s[2:3]
	s_cbranch_execz .LBB53_35
; %bb.52:
	s_mov_b64 s[0:1], exec
	v_add_u32_e32 v0, s8, v1
	s_brev_b32 s2, -2
.LBB53_53:                              ; =>This Inner Loop Header: Depth=1
	s_ff1_i32_b64 s3, s[0:1]
	v_readlane_b32 s6, v0, s3
	s_lshl_b64 s[4:5], 1, s3
	s_min_i32 s2, s2, s6
	s_andn2_b64 s[0:1], s[0:1], s[4:5]
	s_cmp_lg_u64 s[0:1], 0
	s_cbranch_scc1 .LBB53_53
; %bb.54:
	v_mbcnt_lo_u32_b32 v0, exec_lo, 0
	v_mbcnt_hi_u32_b32 v0, exec_hi, v0
	v_cmp_eq_u32_e32 vcc, 0, v0
	s_and_saveexec_b64 s[0:1], vcc
	s_xor_b64 s[0:1], exec, s[0:1]
	s_cbranch_execz .LBB53_35
; %bb.55:
	v_mov_b32_e32 v0, 0
	v_mov_b32_e32 v1, s2
	global_atomic_smin v0, v1, s[20:21]
	s_endpgm
	.section	.rodata,"a",@progbits
	.p2align	6, 0x0
	.amdhsa_kernel _ZN9rocsparseL18bsrsv_lower_sharedILj128ELj64ELi16ELb1E21rocsparse_complex_numIfEEEviNS_24const_host_device_scalarIT3_EEPKiS7_PKS4_iS9_PS4_PiSB_SB_21rocsparse_index_base_20rocsparse_diag_type_20rocsparse_direction_b
		.amdhsa_group_segment_fixed_size 4352
		.amdhsa_private_segment_fixed_size 0
		.amdhsa_kernarg_size 104
		.amdhsa_user_sgpr_count 6
		.amdhsa_user_sgpr_private_segment_buffer 1
		.amdhsa_user_sgpr_dispatch_ptr 0
		.amdhsa_user_sgpr_queue_ptr 0
		.amdhsa_user_sgpr_kernarg_segment_ptr 1
		.amdhsa_user_sgpr_dispatch_id 0
		.amdhsa_user_sgpr_flat_scratch_init 0
		.amdhsa_user_sgpr_private_segment_size 0
		.amdhsa_uses_dynamic_stack 0
		.amdhsa_system_sgpr_private_segment_wavefront_offset 0
		.amdhsa_system_sgpr_workgroup_id_x 1
		.amdhsa_system_sgpr_workgroup_id_y 0
		.amdhsa_system_sgpr_workgroup_id_z 0
		.amdhsa_system_sgpr_workgroup_info 0
		.amdhsa_system_vgpr_workitem_id 0
		.amdhsa_next_free_vgpr 44
		.amdhsa_next_free_sgpr 61
		.amdhsa_reserve_vcc 1
		.amdhsa_reserve_flat_scratch 0
		.amdhsa_float_round_mode_32 0
		.amdhsa_float_round_mode_16_64 0
		.amdhsa_float_denorm_mode_32 3
		.amdhsa_float_denorm_mode_16_64 3
		.amdhsa_dx10_clamp 1
		.amdhsa_ieee_mode 1
		.amdhsa_fp16_overflow 0
		.amdhsa_exception_fp_ieee_invalid_op 0
		.amdhsa_exception_fp_denorm_src 0
		.amdhsa_exception_fp_ieee_div_zero 0
		.amdhsa_exception_fp_ieee_overflow 0
		.amdhsa_exception_fp_ieee_underflow 0
		.amdhsa_exception_fp_ieee_inexact 0
		.amdhsa_exception_int_div_zero 0
	.end_amdhsa_kernel
	.section	.text._ZN9rocsparseL18bsrsv_lower_sharedILj128ELj64ELi16ELb1E21rocsparse_complex_numIfEEEviNS_24const_host_device_scalarIT3_EEPKiS7_PKS4_iS9_PS4_PiSB_SB_21rocsparse_index_base_20rocsparse_diag_type_20rocsparse_direction_b,"axG",@progbits,_ZN9rocsparseL18bsrsv_lower_sharedILj128ELj64ELi16ELb1E21rocsparse_complex_numIfEEEviNS_24const_host_device_scalarIT3_EEPKiS7_PKS4_iS9_PS4_PiSB_SB_21rocsparse_index_base_20rocsparse_diag_type_20rocsparse_direction_b,comdat
.Lfunc_end53:
	.size	_ZN9rocsparseL18bsrsv_lower_sharedILj128ELj64ELi16ELb1E21rocsparse_complex_numIfEEEviNS_24const_host_device_scalarIT3_EEPKiS7_PKS4_iS9_PS4_PiSB_SB_21rocsparse_index_base_20rocsparse_diag_type_20rocsparse_direction_b, .Lfunc_end53-_ZN9rocsparseL18bsrsv_lower_sharedILj128ELj64ELi16ELb1E21rocsparse_complex_numIfEEEviNS_24const_host_device_scalarIT3_EEPKiS7_PKS4_iS9_PS4_PiSB_SB_21rocsparse_index_base_20rocsparse_diag_type_20rocsparse_direction_b
                                        ; -- End function
	.set _ZN9rocsparseL18bsrsv_lower_sharedILj128ELj64ELi16ELb1E21rocsparse_complex_numIfEEEviNS_24const_host_device_scalarIT3_EEPKiS7_PKS4_iS9_PS4_PiSB_SB_21rocsparse_index_base_20rocsparse_diag_type_20rocsparse_direction_b.num_vgpr, 44
	.set _ZN9rocsparseL18bsrsv_lower_sharedILj128ELj64ELi16ELb1E21rocsparse_complex_numIfEEEviNS_24const_host_device_scalarIT3_EEPKiS7_PKS4_iS9_PS4_PiSB_SB_21rocsparse_index_base_20rocsparse_diag_type_20rocsparse_direction_b.num_agpr, 0
	.set _ZN9rocsparseL18bsrsv_lower_sharedILj128ELj64ELi16ELb1E21rocsparse_complex_numIfEEEviNS_24const_host_device_scalarIT3_EEPKiS7_PKS4_iS9_PS4_PiSB_SB_21rocsparse_index_base_20rocsparse_diag_type_20rocsparse_direction_b.numbered_sgpr, 35
	.set _ZN9rocsparseL18bsrsv_lower_sharedILj128ELj64ELi16ELb1E21rocsparse_complex_numIfEEEviNS_24const_host_device_scalarIT3_EEPKiS7_PKS4_iS9_PS4_PiSB_SB_21rocsparse_index_base_20rocsparse_diag_type_20rocsparse_direction_b.num_named_barrier, 0
	.set _ZN9rocsparseL18bsrsv_lower_sharedILj128ELj64ELi16ELb1E21rocsparse_complex_numIfEEEviNS_24const_host_device_scalarIT3_EEPKiS7_PKS4_iS9_PS4_PiSB_SB_21rocsparse_index_base_20rocsparse_diag_type_20rocsparse_direction_b.private_seg_size, 0
	.set _ZN9rocsparseL18bsrsv_lower_sharedILj128ELj64ELi16ELb1E21rocsparse_complex_numIfEEEviNS_24const_host_device_scalarIT3_EEPKiS7_PKS4_iS9_PS4_PiSB_SB_21rocsparse_index_base_20rocsparse_diag_type_20rocsparse_direction_b.uses_vcc, 1
	.set _ZN9rocsparseL18bsrsv_lower_sharedILj128ELj64ELi16ELb1E21rocsparse_complex_numIfEEEviNS_24const_host_device_scalarIT3_EEPKiS7_PKS4_iS9_PS4_PiSB_SB_21rocsparse_index_base_20rocsparse_diag_type_20rocsparse_direction_b.uses_flat_scratch, 0
	.set _ZN9rocsparseL18bsrsv_lower_sharedILj128ELj64ELi16ELb1E21rocsparse_complex_numIfEEEviNS_24const_host_device_scalarIT3_EEPKiS7_PKS4_iS9_PS4_PiSB_SB_21rocsparse_index_base_20rocsparse_diag_type_20rocsparse_direction_b.has_dyn_sized_stack, 0
	.set _ZN9rocsparseL18bsrsv_lower_sharedILj128ELj64ELi16ELb1E21rocsparse_complex_numIfEEEviNS_24const_host_device_scalarIT3_EEPKiS7_PKS4_iS9_PS4_PiSB_SB_21rocsparse_index_base_20rocsparse_diag_type_20rocsparse_direction_b.has_recursion, 0
	.set _ZN9rocsparseL18bsrsv_lower_sharedILj128ELj64ELi16ELb1E21rocsparse_complex_numIfEEEviNS_24const_host_device_scalarIT3_EEPKiS7_PKS4_iS9_PS4_PiSB_SB_21rocsparse_index_base_20rocsparse_diag_type_20rocsparse_direction_b.has_indirect_call, 0
	.section	.AMDGPU.csdata,"",@progbits
; Kernel info:
; codeLenInByte = 2288
; TotalNumSgprs: 39
; NumVgprs: 44
; ScratchSize: 0
; MemoryBound: 0
; FloatMode: 240
; IeeeMode: 1
; LDSByteSize: 4352 bytes/workgroup (compile time only)
; SGPRBlocks: 8
; VGPRBlocks: 10
; NumSGPRsForWavesPerEU: 65
; NumVGPRsForWavesPerEU: 44
; Occupancy: 5
; WaveLimiterHint : 1
; COMPUTE_PGM_RSRC2:SCRATCH_EN: 0
; COMPUTE_PGM_RSRC2:USER_SGPR: 6
; COMPUTE_PGM_RSRC2:TRAP_HANDLER: 0
; COMPUTE_PGM_RSRC2:TGID_X_EN: 1
; COMPUTE_PGM_RSRC2:TGID_Y_EN: 0
; COMPUTE_PGM_RSRC2:TGID_Z_EN: 0
; COMPUTE_PGM_RSRC2:TIDIG_COMP_CNT: 0
	.section	.text._ZN9rocsparseL18bsrsv_lower_sharedILj128ELj64ELi16ELb0E21rocsparse_complex_numIfEEEviNS_24const_host_device_scalarIT3_EEPKiS7_PKS4_iS9_PS4_PiSB_SB_21rocsparse_index_base_20rocsparse_diag_type_20rocsparse_direction_b,"axG",@progbits,_ZN9rocsparseL18bsrsv_lower_sharedILj128ELj64ELi16ELb0E21rocsparse_complex_numIfEEEviNS_24const_host_device_scalarIT3_EEPKiS7_PKS4_iS9_PS4_PiSB_SB_21rocsparse_index_base_20rocsparse_diag_type_20rocsparse_direction_b,comdat
	.globl	_ZN9rocsparseL18bsrsv_lower_sharedILj128ELj64ELi16ELb0E21rocsparse_complex_numIfEEEviNS_24const_host_device_scalarIT3_EEPKiS7_PKS4_iS9_PS4_PiSB_SB_21rocsparse_index_base_20rocsparse_diag_type_20rocsparse_direction_b ; -- Begin function _ZN9rocsparseL18bsrsv_lower_sharedILj128ELj64ELi16ELb0E21rocsparse_complex_numIfEEEviNS_24const_host_device_scalarIT3_EEPKiS7_PKS4_iS9_PS4_PiSB_SB_21rocsparse_index_base_20rocsparse_diag_type_20rocsparse_direction_b
	.p2align	8
	.type	_ZN9rocsparseL18bsrsv_lower_sharedILj128ELj64ELi16ELb0E21rocsparse_complex_numIfEEEviNS_24const_host_device_scalarIT3_EEPKiS7_PKS4_iS9_PS4_PiSB_SB_21rocsparse_index_base_20rocsparse_diag_type_20rocsparse_direction_b,@function
_ZN9rocsparseL18bsrsv_lower_sharedILj128ELj64ELi16ELb0E21rocsparse_complex_numIfEEEviNS_24const_host_device_scalarIT3_EEPKiS7_PKS4_iS9_PS4_PiSB_SB_21rocsparse_index_base_20rocsparse_diag_type_20rocsparse_direction_b: ; @_ZN9rocsparseL18bsrsv_lower_sharedILj128ELj64ELi16ELb0E21rocsparse_complex_numIfEEEviNS_24const_host_device_scalarIT3_EEPKiS7_PKS4_iS9_PS4_PiSB_SB_21rocsparse_index_base_20rocsparse_diag_type_20rocsparse_direction_b
; %bb.0:
	s_load_dwordx4 s[8:11], s[4:5], 0x58
	s_load_dwordx2 s[2:3], s[4:5], 0x8
	s_waitcnt lgkmcnt(0)
	s_bitcmp1_b32 s11, 0
	s_cselect_b64 s[12:13], -1, 0
	s_xor_b64 s[0:1], s[12:13], -1
	s_and_b64 vcc, exec, s[12:13]
	s_mov_b32 s11, s2
	s_cbranch_vccnz .LBB54_2
; %bb.1:
	s_load_dword s11, s[2:3], 0x0
.LBB54_2:
	s_andn2_b64 vcc, exec, s[0:1]
	s_cbranch_vccnz .LBB54_4
; %bb.3:
	s_load_dword s3, s[2:3], 0x4
.LBB54_4:
	s_nop 0
	s_load_dword s2, s[4:5], 0x0
	s_lshl_b32 s0, s6, 1
	v_lshrrev_b32_e32 v12, 6, v0
	s_and_b32 s0, s0, 0x3fffffe
	v_or_b32_e32 v1, s0, v12
	s_waitcnt lgkmcnt(0)
	v_cmp_gt_i32_e32 vcc, s2, v1
	s_and_saveexec_b64 s[0:1], vcc
	s_cbranch_execz .LBB54_33
; %bb.5:
	s_load_dwordx2 s[0:1], s[4:5], 0x48
	s_load_dwordx4 s[12:15], s[4:5], 0x38
	v_lshlrev_b32_e32 v1, 2, v1
	v_mov_b32_e32 v7, 0
	v_mov_b32_e32 v8, 0
	s_waitcnt lgkmcnt(0)
	global_load_dword v1, v1, s[0:1]
	s_load_dwordx2 s[0:1], s[4:5], 0x10
	s_load_dword s33, s[4:5], 0x28
	s_waitcnt lgkmcnt(0)
	v_mov_b32_e32 v5, s1
	s_waitcnt vmcnt(0)
	v_ashrrev_i32_e32 v2, 31, v1
	v_lshlrev_b64 v[2:3], 2, v[1:2]
	v_add_co_u32_e32 v4, vcc, s0, v2
	v_addc_co_u32_e32 v5, vcc, v5, v3, vcc
	global_load_dwordx2 v[9:10], v[4:5], off
	v_and_b32_e32 v4, 63, v0
	v_cmp_gt_i32_e64 s[0:1], s33, v4
	s_and_saveexec_b64 s[6:7], s[0:1]
	s_cbranch_execz .LBB54_7
; %bb.6:
	v_mad_u64_u32 v[5:6], s[16:17], v1, s33, v[4:5]
	s_load_dwordx2 s[16:17], s[4:5], 0x30
	v_ashrrev_i32_e32 v6, 31, v5
	v_lshlrev_b64 v[5:6], 3, v[5:6]
	s_waitcnt lgkmcnt(0)
	v_mov_b32_e32 v7, s17
	v_add_co_u32_e32 v5, vcc, s16, v5
	v_addc_co_u32_e32 v6, vcc, v7, v6, vcc
	global_load_dwordx2 v[7:8], v[5:6], off
.LBB54_7:
	s_or_b64 exec, exec, s[6:7]
	s_load_dwordx2 s[20:21], s[4:5], 0x50
	s_waitcnt vmcnt(0)
	v_mul_f32_e64 v5, v8, -s3
	v_mul_f32_e32 v6, s11, v8
	v_fmac_f32_e32 v5, s11, v7
	v_fmac_f32_e32 v6, s3, v7
	v_lshlrev_b32_e32 v11, 11, v12
	v_cmp_lt_i32_e32 vcc, v9, v10
	v_mov_b32_e32 v8, s2
	s_and_saveexec_b64 s[22:23], vcc
	s_cbranch_execz .LBB54_30
; %bb.8:
	v_mov_b32_e32 v7, 0x1000
	v_lshl_or_b32 v12, v12, 7, v7
	v_subrev_u32_e32 v7, s8, v9
	v_and_b32_e32 v0, 15, v0
	v_mad_u64_u32 v[8:9], s[6:7], s33, v7, v[0:1]
	s_load_dwordx4 s[16:19], s[4:5], 0x18
	v_lshrrev_b32_e32 v14, 4, v4
	v_mul_lo_u32 v17, s33, v8
	v_lshlrev_b32_e32 v9, 3, v4
	s_cmp_lg_u32 s10, 0
	v_add_u32_e32 v15, v12, v9
	v_add_u32_e32 v16, v11, v9
	v_lshlrev_b32_e32 v8, 7, v14
	v_lshlrev_b32_e32 v9, 3, v0
	v_subrev_u32_e32 v13, s8, v10
	v_cmp_gt_i32_e64 s[2:3], s33, v0
	s_cselect_b64 s[10:11], -1, 0
	v_cmp_gt_u32_e64 s[4:5], 16, v4
	s_mul_i32 s34, s33, s33
	v_add3_u32 v18, v11, v8, v9
	s_mov_b64 s[24:25], 0
	s_waitcnt lgkmcnt(0)
	v_mov_b32_e32 v19, s17
	s_branch .LBB54_11
.LBB54_9:                               ;   in Loop: Header=BB54_11 Depth=1
	s_or_b64 exec, exec, s[6:7]
.LBB54_10:                              ;   in Loop: Header=BB54_11 Depth=1
	s_or_b64 exec, exec, s[26:27]
	v_add_u32_e32 v7, 1, v7
	v_cmp_ge_i32_e64 s[6:7], v7, v13
	s_xor_b64 s[26:27], vcc, -1
	s_or_b64 s[6:7], s[26:27], s[6:7]
	s_and_b64 s[6:7], exec, s[6:7]
	s_or_b64 s[24:25], s[6:7], s[24:25]
	v_add_u32_e32 v17, s34, v17
	s_andn2_b64 exec, exec, s[24:25]
	s_cbranch_execz .LBB54_29
.LBB54_11:                              ; =>This Loop Header: Depth=1
                                        ;     Child Loop BB54_14 Depth 2
                                        ;     Child Loop BB54_22 Depth 2
	v_ashrrev_i32_e32 v8, 31, v7
	v_lshlrev_b64 v[8:9], 2, v[7:8]
	v_mul_lo_u32 v20, v7, s33
	v_add_co_u32_e32 v8, vcc, s16, v8
	v_addc_co_u32_e32 v9, vcc, v19, v9, vcc
	global_load_dword v10, v[8:9], off
	s_mov_b64 s[6:7], 0
	v_mov_b32_e32 v21, v18
	v_mov_b32_e32 v22, v14
	s_branch .LBB54_14
.LBB54_12:                              ;   in Loop: Header=BB54_14 Depth=2
	v_ashrrev_i32_e32 v9, 31, v8
	v_lshlrev_b64 v[8:9], 3, v[8:9]
	v_mov_b32_e32 v23, s19
	v_add_co_u32_e32 v8, vcc, s18, v8
	v_addc_co_u32_e32 v9, vcc, v23, v9, vcc
	global_load_dwordx2 v[8:9], v[8:9], off
.LBB54_13:                              ;   in Loop: Header=BB54_14 Depth=2
	s_or_b64 exec, exec, s[26:27]
	s_waitcnt vmcnt(0)
	ds_write_b64 v21, v[8:9]
	v_add_u32_e32 v8, 4, v22
	v_cmp_lt_u32_e32 vcc, 11, v22
	v_add_u32_e32 v21, 0x200, v21
	s_or_b64 s[6:7], vcc, s[6:7]
	v_mov_b32_e32 v22, v8
	s_andn2_b64 exec, exec, s[6:7]
	s_cbranch_execz .LBB54_19
.LBB54_14:                              ;   Parent Loop BB54_11 Depth=1
                                        ; =>  This Inner Loop Header: Depth=2
	v_cmp_gt_i32_e32 vcc, s33, v22
	s_and_b64 s[28:29], s[2:3], vcc
	v_mov_b32_e32 v8, 0
	v_mov_b32_e32 v9, 0
	s_and_saveexec_b64 s[26:27], s[28:29]
	s_cbranch_execz .LBB54_13
; %bb.15:                               ;   in Loop: Header=BB54_14 Depth=2
	s_and_b64 vcc, exec, s[10:11]
	s_cbranch_vccz .LBB54_17
; %bb.16:                               ;   in Loop: Header=BB54_14 Depth=2
	v_add_u32_e32 v8, v22, v20
	v_mad_u64_u32 v[8:9], s[28:29], v8, s33, v[0:1]
	s_cbranch_execnz .LBB54_12
	s_branch .LBB54_18
.LBB54_17:                              ;   in Loop: Header=BB54_14 Depth=2
                                        ; implicit-def: $vgpr8
.LBB54_18:                              ;   in Loop: Header=BB54_14 Depth=2
	v_add_u32_e32 v8, v17, v22
	s_branch .LBB54_12
.LBB54_19:                              ;   in Loop: Header=BB54_11 Depth=1
	s_or_b64 exec, exec, s[6:7]
	v_subrev_u32_e32 v8, s8, v10
	v_cmp_lt_i32_e32 vcc, v8, v1
	s_and_saveexec_b64 s[26:27], vcc
	s_cbranch_execz .LBB54_10
; %bb.20:                               ;   in Loop: Header=BB54_11 Depth=1
	v_ashrrev_i32_e32 v9, 31, v8
	v_lshlrev_b64 v[9:10], 2, v[8:9]
	v_mov_b32_e32 v20, s15
	v_add_co_u32_e64 v9, s[6:7], s14, v9
	v_addc_co_u32_e64 v10, s[6:7], v20, v10, s[6:7]
	global_load_dword v20, v[9:10], off glc
	s_waitcnt vmcnt(0)
	v_cmp_eq_u32_e64 s[6:7], 0, v20
	s_and_saveexec_b64 s[28:29], s[6:7]
	s_cbranch_execz .LBB54_23
; %bb.21:                               ;   in Loop: Header=BB54_11 Depth=1
	s_mov_b64 s[30:31], 0
.LBB54_22:                              ;   Parent Loop BB54_11 Depth=1
                                        ; =>  This Inner Loop Header: Depth=2
	global_load_dword v20, v[9:10], off glc
	s_waitcnt vmcnt(0)
	v_cmp_ne_u32_e64 s[6:7], 0, v20
	s_or_b64 s[30:31], s[6:7], s[30:31]
	s_andn2_b64 exec, exec, s[30:31]
	s_cbranch_execnz .LBB54_22
.LBB54_23:                              ;   in Loop: Header=BB54_11 Depth=1
	s_or_b64 exec, exec, s[28:29]
	s_waitcnt lgkmcnt(0)
	buffer_wbinvl1_vol
	s_and_saveexec_b64 s[28:29], s[4:5]
	s_cbranch_execz .LBB54_27
; %bb.24:                               ;   in Loop: Header=BB54_11 Depth=1
	v_mov_b32_e32 v10, 0
	v_mov_b32_e32 v9, 0
	s_and_saveexec_b64 s[30:31], s[0:1]
	s_cbranch_execz .LBB54_26
; %bb.25:                               ;   in Loop: Header=BB54_11 Depth=1
	v_mad_u64_u32 v[9:10], s[6:7], v8, s33, v[4:5]
	v_mov_b32_e32 v20, s13
	v_ashrrev_i32_e32 v10, 31, v9
	v_lshlrev_b64 v[9:10], 3, v[9:10]
	v_add_co_u32_e64 v9, s[6:7], s12, v9
	v_addc_co_u32_e64 v10, s[6:7], v20, v10, s[6:7]
	global_load_dwordx2 v[9:10], v[9:10], off
.LBB54_26:                              ;   in Loop: Header=BB54_11 Depth=1
	s_or_b64 exec, exec, s[30:31]
	s_waitcnt vmcnt(0)
	ds_write_b64 v15, v[9:10]
.LBB54_27:                              ;   in Loop: Header=BB54_11 Depth=1
	s_or_b64 exec, exec, s[28:29]
	s_waitcnt lgkmcnt(0)
	s_and_saveexec_b64 s[6:7], s[0:1]
	s_cbranch_execz .LBB54_9
; %bb.28:                               ;   in Loop: Header=BB54_11 Depth=1
	ds_read2_b64 v[20:23], v16 offset1:16
	ds_read_b128 v[24:27], v12
	ds_read_b128 v[28:31], v12 offset:16
	ds_read_b128 v[32:35], v12 offset:32
	;; [unrolled: 1-line block ×3, first 2 shown]
	ds_read2_b64 v[40:43], v16 offset0:32 offset1:48
	s_waitcnt lgkmcnt(4)
	v_fma_f32 v5, -v20, v24, v5
	v_fma_f32 v6, -v21, v24, v6
	v_fmac_f32_e32 v5, v21, v25
	v_fma_f32 v6, -v20, v25, v6
	v_fma_f32 v5, -v22, v26, v5
	v_fma_f32 v6, -v23, v26, v6
	v_fmac_f32_e32 v5, v23, v27
	v_fma_f32 v6, -v22, v27, v6
	ds_read2_b64 v[20:23], v16 offset0:64 offset1:80
	s_waitcnt lgkmcnt(1)
	v_fma_f32 v5, -v40, v28, v5
	v_fma_f32 v6, -v41, v28, v6
	v_fmac_f32_e32 v5, v41, v29
	v_fma_f32 v6, -v40, v29, v6
	v_fma_f32 v5, -v42, v30, v5
	v_fma_f32 v6, -v43, v30, v6
	v_fmac_f32_e32 v5, v43, v31
	v_fma_f32 v6, -v42, v31, v6
	;; [unrolled: 10-line block ×3, first 2 shown]
	ds_read2_b64 v[20:23], v16 offset0:128 offset1:144
	ds_read_b128 v[28:31], v12 offset:64
	s_waitcnt lgkmcnt(2)
	v_fma_f32 v5, -v24, v36, v5
	v_fma_f32 v6, -v25, v36, v6
	v_fmac_f32_e32 v5, v25, v37
	v_fma_f32 v6, -v24, v37, v6
	v_fma_f32 v5, -v26, v38, v5
	;; [unrolled: 1-line block ×3, first 2 shown]
	v_fmac_f32_e32 v5, v27, v39
	v_fma_f32 v6, -v26, v39, v6
	ds_read_b128 v[24:27], v12 offset:80
	ds_read2_b64 v[32:35], v16 offset0:160 offset1:176
	s_waitcnt lgkmcnt(2)
	v_fma_f32 v5, -v20, v28, v5
	v_fma_f32 v6, -v21, v28, v6
	v_fmac_f32_e32 v5, v21, v29
	v_fma_f32 v6, -v20, v29, v6
	v_fma_f32 v5, -v22, v30, v5
	;; [unrolled: 1-line block ×3, first 2 shown]
	v_fmac_f32_e32 v5, v23, v31
	v_fma_f32 v6, -v22, v31, v6
	ds_read2_b64 v[20:23], v16 offset0:192 offset1:208
	ds_read_b128 v[28:31], v12 offset:96
	s_waitcnt lgkmcnt(2)
	v_fma_f32 v5, -v32, v24, v5
	v_fma_f32 v6, -v33, v24, v6
	v_fmac_f32_e32 v5, v33, v25
	v_fma_f32 v6, -v32, v25, v6
	v_fma_f32 v5, -v34, v26, v5
	;; [unrolled: 1-line block ×3, first 2 shown]
	v_fmac_f32_e32 v5, v35, v27
	v_fma_f32 v6, -v34, v27, v6
	ds_read_b128 v[24:27], v12 offset:112
	ds_read2_b64 v[32:35], v16 offset0:224 offset1:240
	s_waitcnt lgkmcnt(2)
	v_fma_f32 v5, -v20, v28, v5
	v_fma_f32 v6, -v21, v28, v6
	v_fmac_f32_e32 v5, v21, v29
	v_fma_f32 v6, -v20, v29, v6
	v_fma_f32 v5, -v22, v30, v5
	v_fma_f32 v6, -v23, v30, v6
	v_fmac_f32_e32 v5, v23, v31
	v_fma_f32 v6, -v22, v31, v6
	s_waitcnt lgkmcnt(0)
	v_fma_f32 v5, -v32, v24, v5
	v_fma_f32 v6, -v33, v24, v6
	v_fmac_f32_e32 v5, v33, v25
	v_fma_f32 v6, -v32, v25, v6
	v_fma_f32 v5, -v34, v26, v5
	;; [unrolled: 1-line block ×3, first 2 shown]
	v_fmac_f32_e32 v5, v35, v27
	v_fma_f32 v6, -v34, v27, v6
	s_branch .LBB54_9
.LBB54_29:
	s_or_b64 exec, exec, s[24:25]
.LBB54_30:
	s_or_b64 exec, exec, s[22:23]
	s_cmp_gt_i32 s33, 0
	v_cmp_eq_u32_e32 vcc, v8, v1
	s_cselect_b64 s[2:3], -1, 0
	s_mov_b32 s18, 0
	s_and_b64 s[4:5], s[2:3], vcc
	s_mov_b64 s[2:3], 0
	s_and_saveexec_b64 s[6:7], s[4:5]
	s_cbranch_execnz .LBB54_34
; %bb.31:
	s_or_b64 exec, exec, s[6:7]
	s_and_saveexec_b64 s[4:5], s[0:1]
	s_cbranch_execnz .LBB54_48
.LBB54_32:
	s_or_b64 exec, exec, s[4:5]
	v_cmp_eq_u32_e32 vcc, 0, v4
	s_and_b64 exec, exec, vcc
	s_cbranch_execnz .LBB54_49
.LBB54_33:
	s_endpgm
.LBB54_34:
	s_cmp_eq_u32 s9, 0
	v_mbcnt_lo_u32_b32 v0, -1, 0
	s_cselect_b64 s[2:3], -1, 0
	v_mbcnt_hi_u32_b32 v0, -1, v0
	v_cndmask_b32_e64 v7, 0, 1, s[2:3]
	v_and_b32_e32 v0, 64, v0
	v_lshl_add_u32 v9, v4, 3, v11
	s_mov_b64 s[16:17], 0
	v_cmp_ne_u32_e64 s[2:3], 1, v7
                                        ; implicit-def: $sgpr10_sgpr11
	s_and_b64 vcc, exec, s[2:3]
	s_cbranch_vccz .LBB54_36
.LBB54_35:
	v_mov_b32_e32 v7, 1.0
	v_mov_b32_e32 v8, 0
	s_branch .LBB54_37
.LBB54_36:
	ds_read_b64 v[7:8], v11
.LBB54_37:
	v_and_or_b32 v10, s18, 63, v0
	v_lshlrev_b32_e32 v10, 2, v10
	ds_bpermute_b32 v12, v10, v5
	ds_bpermute_b32 v10, v10, v6
	s_waitcnt lgkmcnt(0)
	v_cmp_neq_f32_e32 vcc, 0, v7
	v_cmp_neq_f32_e64 s[4:5], 0, v8
	s_or_b64 s[22:23], vcc, s[4:5]
	s_or_b64 s[10:11], s[10:11], exec
	s_and_saveexec_b64 s[4:5], s[22:23]
	s_cbranch_execz .LBB54_39
; %bb.38:
	v_mul_f32_e32 v13, v8, v8
	v_fmac_f32_e32 v13, v7, v7
	v_div_scale_f32 v14, s[22:23], v13, v13, 1.0
	v_div_scale_f32 v15, vcc, 1.0, v13, 1.0
	s_andn2_b64 s[10:11], s[10:11], exec
	s_and_b64 s[16:17], s[16:17], exec
	s_or_b64 s[10:11], s[10:11], s[16:17]
	v_rcp_f32_e32 v16, v14
	v_fma_f32 v17, -v14, v16, 1.0
	v_fmac_f32_e32 v16, v17, v16
	v_mul_f32_e32 v17, v15, v16
	v_fma_f32 v18, -v14, v17, v15
	v_fmac_f32_e32 v17, v18, v16
	v_fma_f32 v14, -v14, v17, v15
	v_div_fmas_f32 v14, v14, v16, v17
	v_mul_f32_e32 v15, v8, v10
	v_mul_f32_e64 v8, v8, -v12
	v_fmac_f32_e32 v15, v12, v7
	v_fmac_f32_e32 v8, v10, v7
	v_div_fixup_f32 v7, v14, v13, 1.0
	v_mul_f32_e32 v12, v7, v15
	v_mul_f32_e32 v10, v7, v8
.LBB54_39:
	s_or_b64 exec, exec, s[4:5]
	s_and_saveexec_b64 s[4:5], s[0:1]
	s_cbranch_execz .LBB54_45
; %bb.40:
	v_cmp_ge_u32_e32 vcc, s18, v4
	s_and_saveexec_b64 s[16:17], vcc
	s_xor_b64 s[16:17], exec, s[16:17]
; %bb.41:
	v_cmp_eq_u32_e32 vcc, s18, v4
	v_cndmask_b32_e32 v5, v5, v12, vcc
	v_cndmask_b32_e32 v6, v6, v10, vcc
                                        ; implicit-def: $vgpr12
                                        ; implicit-def: $vgpr10
; %bb.42:
	s_andn2_saveexec_b64 s[16:17], s[16:17]
	s_cbranch_execz .LBB54_44
; %bb.43:
	ds_read_b64 v[7:8], v9
	s_waitcnt lgkmcnt(0)
	v_fma_f32 v5, -v12, v7, v5
	v_fma_f32 v6, -v10, v7, v6
	v_fmac_f32_e32 v5, v10, v8
	v_fma_f32 v6, -v12, v8, v6
.LBB54_44:
	s_or_b64 exec, exec, s[16:17]
.LBB54_45:
	s_or_b64 exec, exec, s[4:5]
	s_add_i32 s18, s18, 1
	v_add_u32_e32 v9, 0x80, v9
	s_cmp_lg_u32 s33, s18
	v_add_u32_e32 v11, 0x88, v11
	s_cbranch_scc0 .LBB54_47
; %bb.46:
	s_mov_b64 s[16:17], s[10:11]
	s_and_b64 vcc, exec, s[2:3]
	s_cbranch_vccnz .LBB54_35
	s_branch .LBB54_36
.LBB54_47:
	s_and_b64 s[2:3], s[10:11], exec
	s_or_b64 exec, exec, s[6:7]
	s_and_saveexec_b64 s[4:5], s[0:1]
	s_cbranch_execz .LBB54_32
.LBB54_48:
	v_mad_u64_u32 v[7:8], s[0:1], v1, s33, v[4:5]
	v_mov_b32_e32 v0, s13
	v_ashrrev_i32_e32 v8, 31, v7
	v_lshlrev_b64 v[7:8], 3, v[7:8]
	v_add_co_u32_e32 v7, vcc, s12, v7
	v_addc_co_u32_e32 v8, vcc, v0, v8, vcc
	global_store_dwordx2 v[7:8], v[5:6], off
	s_or_b64 exec, exec, s[4:5]
	v_cmp_eq_u32_e32 vcc, 0, v4
	s_and_b64 exec, exec, vcc
	s_cbranch_execz .LBB54_33
.LBB54_49:
	v_mov_b32_e32 v0, s15
	v_add_co_u32_e32 v2, vcc, s14, v2
	v_addc_co_u32_e32 v3, vcc, v0, v3, vcc
	v_mov_b32_e32 v0, 1
	s_waitcnt vmcnt(0) lgkmcnt(0)
	global_store_dword v[2:3], v0, off
	s_and_b64 exec, exec, s[2:3]
	s_cbranch_execz .LBB54_33
; %bb.50:
	s_mov_b64 s[0:1], exec
	v_add_u32_e32 v0, s8, v1
	s_brev_b32 s2, -2
.LBB54_51:                              ; =>This Inner Loop Header: Depth=1
	s_ff1_i32_b64 s3, s[0:1]
	v_readlane_b32 s6, v0, s3
	s_lshl_b64 s[4:5], 1, s3
	s_min_i32 s2, s2, s6
	s_andn2_b64 s[0:1], s[0:1], s[4:5]
	s_cmp_lg_u64 s[0:1], 0
	s_cbranch_scc1 .LBB54_51
; %bb.52:
	v_mbcnt_lo_u32_b32 v0, exec_lo, 0
	v_mbcnt_hi_u32_b32 v0, exec_hi, v0
	v_cmp_eq_u32_e32 vcc, 0, v0
	s_and_saveexec_b64 s[0:1], vcc
	s_xor_b64 s[0:1], exec, s[0:1]
	s_cbranch_execz .LBB54_33
; %bb.53:
	v_mov_b32_e32 v0, 0
	v_mov_b32_e32 v1, s2
	global_atomic_smin v0, v1, s[20:21]
	s_endpgm
	.section	.rodata,"a",@progbits
	.p2align	6, 0x0
	.amdhsa_kernel _ZN9rocsparseL18bsrsv_lower_sharedILj128ELj64ELi16ELb0E21rocsparse_complex_numIfEEEviNS_24const_host_device_scalarIT3_EEPKiS7_PKS4_iS9_PS4_PiSB_SB_21rocsparse_index_base_20rocsparse_diag_type_20rocsparse_direction_b
		.amdhsa_group_segment_fixed_size 4352
		.amdhsa_private_segment_fixed_size 0
		.amdhsa_kernarg_size 104
		.amdhsa_user_sgpr_count 6
		.amdhsa_user_sgpr_private_segment_buffer 1
		.amdhsa_user_sgpr_dispatch_ptr 0
		.amdhsa_user_sgpr_queue_ptr 0
		.amdhsa_user_sgpr_kernarg_segment_ptr 1
		.amdhsa_user_sgpr_dispatch_id 0
		.amdhsa_user_sgpr_flat_scratch_init 0
		.amdhsa_user_sgpr_private_segment_size 0
		.amdhsa_uses_dynamic_stack 0
		.amdhsa_system_sgpr_private_segment_wavefront_offset 0
		.amdhsa_system_sgpr_workgroup_id_x 1
		.amdhsa_system_sgpr_workgroup_id_y 0
		.amdhsa_system_sgpr_workgroup_id_z 0
		.amdhsa_system_sgpr_workgroup_info 0
		.amdhsa_system_vgpr_workitem_id 0
		.amdhsa_next_free_vgpr 44
		.amdhsa_next_free_sgpr 61
		.amdhsa_reserve_vcc 1
		.amdhsa_reserve_flat_scratch 0
		.amdhsa_float_round_mode_32 0
		.amdhsa_float_round_mode_16_64 0
		.amdhsa_float_denorm_mode_32 3
		.amdhsa_float_denorm_mode_16_64 3
		.amdhsa_dx10_clamp 1
		.amdhsa_ieee_mode 1
		.amdhsa_fp16_overflow 0
		.amdhsa_exception_fp_ieee_invalid_op 0
		.amdhsa_exception_fp_denorm_src 0
		.amdhsa_exception_fp_ieee_div_zero 0
		.amdhsa_exception_fp_ieee_overflow 0
		.amdhsa_exception_fp_ieee_underflow 0
		.amdhsa_exception_fp_ieee_inexact 0
		.amdhsa_exception_int_div_zero 0
	.end_amdhsa_kernel
	.section	.text._ZN9rocsparseL18bsrsv_lower_sharedILj128ELj64ELi16ELb0E21rocsparse_complex_numIfEEEviNS_24const_host_device_scalarIT3_EEPKiS7_PKS4_iS9_PS4_PiSB_SB_21rocsparse_index_base_20rocsparse_diag_type_20rocsparse_direction_b,"axG",@progbits,_ZN9rocsparseL18bsrsv_lower_sharedILj128ELj64ELi16ELb0E21rocsparse_complex_numIfEEEviNS_24const_host_device_scalarIT3_EEPKiS7_PKS4_iS9_PS4_PiSB_SB_21rocsparse_index_base_20rocsparse_diag_type_20rocsparse_direction_b,comdat
.Lfunc_end54:
	.size	_ZN9rocsparseL18bsrsv_lower_sharedILj128ELj64ELi16ELb0E21rocsparse_complex_numIfEEEviNS_24const_host_device_scalarIT3_EEPKiS7_PKS4_iS9_PS4_PiSB_SB_21rocsparse_index_base_20rocsparse_diag_type_20rocsparse_direction_b, .Lfunc_end54-_ZN9rocsparseL18bsrsv_lower_sharedILj128ELj64ELi16ELb0E21rocsparse_complex_numIfEEEviNS_24const_host_device_scalarIT3_EEPKiS7_PKS4_iS9_PS4_PiSB_SB_21rocsparse_index_base_20rocsparse_diag_type_20rocsparse_direction_b
                                        ; -- End function
	.set _ZN9rocsparseL18bsrsv_lower_sharedILj128ELj64ELi16ELb0E21rocsparse_complex_numIfEEEviNS_24const_host_device_scalarIT3_EEPKiS7_PKS4_iS9_PS4_PiSB_SB_21rocsparse_index_base_20rocsparse_diag_type_20rocsparse_direction_b.num_vgpr, 44
	.set _ZN9rocsparseL18bsrsv_lower_sharedILj128ELj64ELi16ELb0E21rocsparse_complex_numIfEEEviNS_24const_host_device_scalarIT3_EEPKiS7_PKS4_iS9_PS4_PiSB_SB_21rocsparse_index_base_20rocsparse_diag_type_20rocsparse_direction_b.num_agpr, 0
	.set _ZN9rocsparseL18bsrsv_lower_sharedILj128ELj64ELi16ELb0E21rocsparse_complex_numIfEEEviNS_24const_host_device_scalarIT3_EEPKiS7_PKS4_iS9_PS4_PiSB_SB_21rocsparse_index_base_20rocsparse_diag_type_20rocsparse_direction_b.numbered_sgpr, 35
	.set _ZN9rocsparseL18bsrsv_lower_sharedILj128ELj64ELi16ELb0E21rocsparse_complex_numIfEEEviNS_24const_host_device_scalarIT3_EEPKiS7_PKS4_iS9_PS4_PiSB_SB_21rocsparse_index_base_20rocsparse_diag_type_20rocsparse_direction_b.num_named_barrier, 0
	.set _ZN9rocsparseL18bsrsv_lower_sharedILj128ELj64ELi16ELb0E21rocsparse_complex_numIfEEEviNS_24const_host_device_scalarIT3_EEPKiS7_PKS4_iS9_PS4_PiSB_SB_21rocsparse_index_base_20rocsparse_diag_type_20rocsparse_direction_b.private_seg_size, 0
	.set _ZN9rocsparseL18bsrsv_lower_sharedILj128ELj64ELi16ELb0E21rocsparse_complex_numIfEEEviNS_24const_host_device_scalarIT3_EEPKiS7_PKS4_iS9_PS4_PiSB_SB_21rocsparse_index_base_20rocsparse_diag_type_20rocsparse_direction_b.uses_vcc, 1
	.set _ZN9rocsparseL18bsrsv_lower_sharedILj128ELj64ELi16ELb0E21rocsparse_complex_numIfEEEviNS_24const_host_device_scalarIT3_EEPKiS7_PKS4_iS9_PS4_PiSB_SB_21rocsparse_index_base_20rocsparse_diag_type_20rocsparse_direction_b.uses_flat_scratch, 0
	.set _ZN9rocsparseL18bsrsv_lower_sharedILj128ELj64ELi16ELb0E21rocsparse_complex_numIfEEEviNS_24const_host_device_scalarIT3_EEPKiS7_PKS4_iS9_PS4_PiSB_SB_21rocsparse_index_base_20rocsparse_diag_type_20rocsparse_direction_b.has_dyn_sized_stack, 0
	.set _ZN9rocsparseL18bsrsv_lower_sharedILj128ELj64ELi16ELb0E21rocsparse_complex_numIfEEEviNS_24const_host_device_scalarIT3_EEPKiS7_PKS4_iS9_PS4_PiSB_SB_21rocsparse_index_base_20rocsparse_diag_type_20rocsparse_direction_b.has_recursion, 0
	.set _ZN9rocsparseL18bsrsv_lower_sharedILj128ELj64ELi16ELb0E21rocsparse_complex_numIfEEEviNS_24const_host_device_scalarIT3_EEPKiS7_PKS4_iS9_PS4_PiSB_SB_21rocsparse_index_base_20rocsparse_diag_type_20rocsparse_direction_b.has_indirect_call, 0
	.section	.AMDGPU.csdata,"",@progbits
; Kernel info:
; codeLenInByte = 2232
; TotalNumSgprs: 39
; NumVgprs: 44
; ScratchSize: 0
; MemoryBound: 0
; FloatMode: 240
; IeeeMode: 1
; LDSByteSize: 4352 bytes/workgroup (compile time only)
; SGPRBlocks: 8
; VGPRBlocks: 10
; NumSGPRsForWavesPerEU: 65
; NumVGPRsForWavesPerEU: 44
; Occupancy: 5
; WaveLimiterHint : 1
; COMPUTE_PGM_RSRC2:SCRATCH_EN: 0
; COMPUTE_PGM_RSRC2:USER_SGPR: 6
; COMPUTE_PGM_RSRC2:TRAP_HANDLER: 0
; COMPUTE_PGM_RSRC2:TGID_X_EN: 1
; COMPUTE_PGM_RSRC2:TGID_Y_EN: 0
; COMPUTE_PGM_RSRC2:TGID_Z_EN: 0
; COMPUTE_PGM_RSRC2:TIDIG_COMP_CNT: 0
	.section	.text._ZN9rocsparseL18bsrsv_upper_sharedILj128ELj64ELi16ELb1E21rocsparse_complex_numIfEEEviNS_24const_host_device_scalarIT3_EEPKiS7_PKS4_iS9_PS4_PiSB_SB_21rocsparse_index_base_20rocsparse_diag_type_20rocsparse_direction_b,"axG",@progbits,_ZN9rocsparseL18bsrsv_upper_sharedILj128ELj64ELi16ELb1E21rocsparse_complex_numIfEEEviNS_24const_host_device_scalarIT3_EEPKiS7_PKS4_iS9_PS4_PiSB_SB_21rocsparse_index_base_20rocsparse_diag_type_20rocsparse_direction_b,comdat
	.globl	_ZN9rocsparseL18bsrsv_upper_sharedILj128ELj64ELi16ELb1E21rocsparse_complex_numIfEEEviNS_24const_host_device_scalarIT3_EEPKiS7_PKS4_iS9_PS4_PiSB_SB_21rocsparse_index_base_20rocsparse_diag_type_20rocsparse_direction_b ; -- Begin function _ZN9rocsparseL18bsrsv_upper_sharedILj128ELj64ELi16ELb1E21rocsparse_complex_numIfEEEviNS_24const_host_device_scalarIT3_EEPKiS7_PKS4_iS9_PS4_PiSB_SB_21rocsparse_index_base_20rocsparse_diag_type_20rocsparse_direction_b
	.p2align	8
	.type	_ZN9rocsparseL18bsrsv_upper_sharedILj128ELj64ELi16ELb1E21rocsparse_complex_numIfEEEviNS_24const_host_device_scalarIT3_EEPKiS7_PKS4_iS9_PS4_PiSB_SB_21rocsparse_index_base_20rocsparse_diag_type_20rocsparse_direction_b,@function
_ZN9rocsparseL18bsrsv_upper_sharedILj128ELj64ELi16ELb1E21rocsparse_complex_numIfEEEviNS_24const_host_device_scalarIT3_EEPKiS7_PKS4_iS9_PS4_PiSB_SB_21rocsparse_index_base_20rocsparse_diag_type_20rocsparse_direction_b: ; @_ZN9rocsparseL18bsrsv_upper_sharedILj128ELj64ELi16ELb1E21rocsparse_complex_numIfEEEviNS_24const_host_device_scalarIT3_EEPKiS7_PKS4_iS9_PS4_PiSB_SB_21rocsparse_index_base_20rocsparse_diag_type_20rocsparse_direction_b
; %bb.0:
	s_load_dwordx4 s[8:11], s[4:5], 0x58
	s_load_dwordx2 s[2:3], s[4:5], 0x8
	s_waitcnt lgkmcnt(0)
	s_bitcmp1_b32 s11, 0
	s_cselect_b64 s[12:13], -1, 0
	s_xor_b64 s[0:1], s[12:13], -1
	s_and_b64 vcc, exec, s[12:13]
	s_mov_b32 s11, s2
	s_cbranch_vccnz .LBB55_2
; %bb.1:
	s_load_dword s11, s[2:3], 0x0
.LBB55_2:
	s_andn2_b64 vcc, exec, s[0:1]
	s_cbranch_vccnz .LBB55_4
; %bb.3:
	s_load_dword s3, s[2:3], 0x4
.LBB55_4:
	s_nop 0
	s_load_dword s2, s[4:5], 0x0
	s_lshl_b32 s0, s6, 1
	v_lshrrev_b32_e32 v10, 6, v0
	s_and_b32 s0, s0, 0x3fffffe
	v_or_b32_e32 v1, s0, v10
	s_waitcnt lgkmcnt(0)
	v_cmp_gt_i32_e32 vcc, s2, v1
	s_and_saveexec_b64 s[0:1], vcc
	s_cbranch_execz .LBB55_35
; %bb.5:
	s_load_dwordx2 s[0:1], s[4:5], 0x48
	s_load_dwordx4 s[12:15], s[4:5], 0x38
	v_lshlrev_b32_e32 v1, 2, v1
	v_mov_b32_e32 v8, 0
	v_mov_b32_e32 v9, 0
	s_waitcnt lgkmcnt(0)
	global_load_dword v1, v1, s[0:1]
	s_load_dwordx2 s[0:1], s[4:5], 0x10
	s_load_dword s33, s[4:5], 0x28
	s_waitcnt lgkmcnt(0)
	v_mov_b32_e32 v5, s1
	s_waitcnt vmcnt(0)
	v_ashrrev_i32_e32 v2, 31, v1
	v_lshlrev_b64 v[2:3], 2, v[1:2]
	v_add_co_u32_e32 v4, vcc, s0, v2
	v_addc_co_u32_e32 v5, vcc, v5, v3, vcc
	global_load_dwordx2 v[6:7], v[4:5], off
	v_and_b32_e32 v4, 63, v0
	v_cmp_gt_i32_e64 s[0:1], s33, v4
	s_and_saveexec_b64 s[6:7], s[0:1]
	s_cbranch_execz .LBB55_7
; %bb.6:
	v_mad_u64_u32 v[8:9], s[16:17], v1, s33, v[4:5]
	s_load_dwordx2 s[16:17], s[4:5], 0x30
	v_ashrrev_i32_e32 v9, 31, v8
	v_lshlrev_b64 v[8:9], 3, v[8:9]
	s_waitcnt lgkmcnt(0)
	v_mov_b32_e32 v5, s17
	v_add_co_u32_e32 v8, vcc, s16, v8
	v_addc_co_u32_e32 v9, vcc, v5, v9, vcc
	global_load_dwordx2 v[8:9], v[8:9], off
.LBB55_7:
	s_or_b64 exec, exec, s[6:7]
	s_load_dwordx2 s[20:21], s[4:5], 0x50
	s_waitcnt vmcnt(0)
	v_subrev_u32_e32 v13, s8, v6
	v_mul_f32_e64 v5, v9, -s3
	v_mul_f32_e32 v6, s11, v9
	v_xad_u32 v7, s8, -1, v7
	v_fmac_f32_e32 v5, s11, v8
	v_fmac_f32_e32 v6, s3, v8
	v_lshlrev_b32_e32 v11, 11, v10
	v_cmp_ge_i32_e32 vcc, v7, v13
	v_mov_b32_e32 v8, s2
	v_lshlrev_b32_e32 v12, 3, v4
	s_and_saveexec_b64 s[22:23], vcc
	s_cbranch_execz .LBB55_32
; %bb.8:
	v_mov_b32_e32 v8, 0x1000
	v_and_b32_e32 v0, 15, v0
	s_load_dwordx4 s[16:19], s[4:5], 0x18
	v_lshl_or_b32 v14, v10, 7, v8
	v_mad_u64_u32 v[8:9], s[4:5], s33, v7, v[0:1]
	v_lshrrev_b32_e32 v15, 4, v4
	s_cmp_lg_u32 s10, 0
	v_mul_lo_u32 v18, s33, v8
	v_lshlrev_b32_e32 v8, 7, v15
	v_lshlrev_b32_e32 v9, 3, v0
	v_cmp_gt_i32_e64 s[2:3], s33, v0
	s_cselect_b64 s[10:11], -1, 0
	v_cmp_gt_u32_e64 s[4:5], 16, v4
	v_add_u32_e32 v16, v14, v12
	v_add_u32_e32 v17, v11, v12
	s_mul_i32 s34, s33, s33
	v_add3_u32 v19, v11, v8, v9
	s_mov_b64 s[24:25], 0
	s_waitcnt lgkmcnt(0)
	v_mov_b32_e32 v20, s17
	s_branch .LBB55_11
.LBB55_9:                               ;   in Loop: Header=BB55_11 Depth=1
	s_or_b64 exec, exec, s[6:7]
.LBB55_10:                              ;   in Loop: Header=BB55_11 Depth=1
	s_or_b64 exec, exec, s[26:27]
	v_cmp_le_i32_e64 s[6:7], v7, v13
	s_xor_b64 s[26:27], vcc, -1
	s_or_b64 s[6:7], s[26:27], s[6:7]
	v_add_u32_e32 v9, -1, v7
	s_and_b64 s[6:7], exec, s[6:7]
	v_subrev_u32_e32 v18, s34, v18
	s_or_b64 s[24:25], s[6:7], s[24:25]
	v_mov_b32_e32 v7, v9
	s_andn2_b64 exec, exec, s[24:25]
	s_cbranch_execz .LBB55_31
.LBB55_11:                              ; =>This Loop Header: Depth=1
                                        ;     Child Loop BB55_14 Depth 2
                                        ;     Child Loop BB55_23 Depth 2
                                        ;       Child Loop BB55_24 Depth 3
	v_ashrrev_i32_e32 v8, 31, v7
	v_lshlrev_b64 v[8:9], 2, v[7:8]
	v_mul_lo_u32 v21, v7, s33
	v_add_co_u32_e32 v8, vcc, s16, v8
	v_addc_co_u32_e32 v9, vcc, v20, v9, vcc
	global_load_dword v10, v[8:9], off
	s_mov_b64 s[6:7], 0
	v_mov_b32_e32 v22, v19
	v_mov_b32_e32 v23, v15
	s_branch .LBB55_14
.LBB55_12:                              ;   in Loop: Header=BB55_14 Depth=2
	v_ashrrev_i32_e32 v9, 31, v8
	v_lshlrev_b64 v[8:9], 3, v[8:9]
	v_mov_b32_e32 v24, s19
	v_add_co_u32_e32 v8, vcc, s18, v8
	v_addc_co_u32_e32 v9, vcc, v24, v9, vcc
	global_load_dwordx2 v[8:9], v[8:9], off
.LBB55_13:                              ;   in Loop: Header=BB55_14 Depth=2
	s_or_b64 exec, exec, s[26:27]
	s_waitcnt vmcnt(0)
	ds_write_b64 v22, v[8:9]
	v_add_u32_e32 v8, 4, v23
	v_cmp_lt_u32_e32 vcc, 11, v23
	v_add_u32_e32 v22, 0x200, v22
	s_or_b64 s[6:7], vcc, s[6:7]
	v_mov_b32_e32 v23, v8
	s_andn2_b64 exec, exec, s[6:7]
	s_cbranch_execz .LBB55_19
.LBB55_14:                              ;   Parent Loop BB55_11 Depth=1
                                        ; =>  This Inner Loop Header: Depth=2
	v_cmp_gt_i32_e32 vcc, s33, v23
	s_and_b64 s[28:29], s[2:3], vcc
	v_mov_b32_e32 v8, 0
	v_mov_b32_e32 v9, 0
	s_and_saveexec_b64 s[26:27], s[28:29]
	s_cbranch_execz .LBB55_13
; %bb.15:                               ;   in Loop: Header=BB55_14 Depth=2
	s_and_b64 vcc, exec, s[10:11]
	s_cbranch_vccz .LBB55_17
; %bb.16:                               ;   in Loop: Header=BB55_14 Depth=2
	v_add_u32_e32 v8, v23, v21
	v_mad_u64_u32 v[8:9], s[28:29], v8, s33, v[0:1]
	s_cbranch_execnz .LBB55_12
	s_branch .LBB55_18
.LBB55_17:                              ;   in Loop: Header=BB55_14 Depth=2
                                        ; implicit-def: $vgpr8
.LBB55_18:                              ;   in Loop: Header=BB55_14 Depth=2
	v_add_u32_e32 v8, v18, v23
	s_branch .LBB55_12
.LBB55_19:                              ;   in Loop: Header=BB55_11 Depth=1
	s_or_b64 exec, exec, s[6:7]
	v_subrev_u32_e32 v8, s8, v10
	v_cmp_gt_i32_e32 vcc, v8, v1
	s_and_saveexec_b64 s[26:27], vcc
	s_cbranch_execz .LBB55_10
; %bb.20:                               ;   in Loop: Header=BB55_11 Depth=1
	v_ashrrev_i32_e32 v9, 31, v8
	v_lshlrev_b64 v[9:10], 2, v[8:9]
	v_mov_b32_e32 v21, s15
	v_add_co_u32_e64 v9, s[6:7], s14, v9
	v_addc_co_u32_e64 v10, s[6:7], v21, v10, s[6:7]
	global_load_dword v21, v[9:10], off glc
	s_waitcnt vmcnt(0)
	v_cmp_eq_u32_e64 s[6:7], 0, v21
	s_and_saveexec_b64 s[28:29], s[6:7]
	s_cbranch_execz .LBB55_25
; %bb.21:                               ;   in Loop: Header=BB55_11 Depth=1
	s_mov_b32 s17, 0
	s_mov_b64 s[30:31], 0
	s_branch .LBB55_23
.LBB55_22:                              ;   in Loop: Header=BB55_23 Depth=2
	global_load_dword v21, v[9:10], off glc
	s_cmpk_lt_u32 s17, 0xf43
	s_cselect_b64 s[6:7], -1, 0
	s_cmp_lg_u64 s[6:7], 0
	s_addc_u32 s17, s17, 0
	s_waitcnt vmcnt(0)
	v_cmp_ne_u32_e64 s[6:7], 0, v21
	s_or_b64 s[30:31], s[6:7], s[30:31]
	s_andn2_b64 exec, exec, s[30:31]
	s_cbranch_execz .LBB55_25
.LBB55_23:                              ;   Parent Loop BB55_11 Depth=1
                                        ; =>  This Loop Header: Depth=2
                                        ;       Child Loop BB55_24 Depth 3
	s_cmp_eq_u32 s17, 0
	s_mov_b32 s6, s17
	s_cbranch_scc1 .LBB55_22
.LBB55_24:                              ;   Parent Loop BB55_11 Depth=1
                                        ;     Parent Loop BB55_23 Depth=2
                                        ; =>    This Inner Loop Header: Depth=3
	s_add_i32 s6, s6, -1
	s_cmp_eq_u32 s6, 0
	s_sleep 1
	s_cbranch_scc0 .LBB55_24
	s_branch .LBB55_22
.LBB55_25:                              ;   in Loop: Header=BB55_11 Depth=1
	s_or_b64 exec, exec, s[28:29]
	s_waitcnt lgkmcnt(0)
	buffer_wbinvl1_vol
	s_and_saveexec_b64 s[28:29], s[4:5]
	s_cbranch_execz .LBB55_29
; %bb.26:                               ;   in Loop: Header=BB55_11 Depth=1
	v_mov_b32_e32 v10, 0
	v_mov_b32_e32 v9, 0
	s_and_saveexec_b64 s[30:31], s[0:1]
	s_cbranch_execz .LBB55_28
; %bb.27:                               ;   in Loop: Header=BB55_11 Depth=1
	v_mad_u64_u32 v[9:10], s[6:7], v8, s33, v[4:5]
	v_mov_b32_e32 v21, s13
	v_ashrrev_i32_e32 v10, 31, v9
	v_lshlrev_b64 v[9:10], 3, v[9:10]
	v_add_co_u32_e64 v9, s[6:7], s12, v9
	v_addc_co_u32_e64 v10, s[6:7], v21, v10, s[6:7]
	global_load_dwordx2 v[9:10], v[9:10], off
.LBB55_28:                              ;   in Loop: Header=BB55_11 Depth=1
	s_or_b64 exec, exec, s[30:31]
	s_waitcnt vmcnt(0)
	ds_write_b64 v16, v[9:10]
.LBB55_29:                              ;   in Loop: Header=BB55_11 Depth=1
	s_or_b64 exec, exec, s[28:29]
	s_waitcnt lgkmcnt(0)
	s_and_saveexec_b64 s[6:7], s[0:1]
	s_cbranch_execz .LBB55_9
; %bb.30:                               ;   in Loop: Header=BB55_11 Depth=1
	ds_read2_b64 v[21:24], v17 offset1:16
	ds_read_b128 v[25:28], v14
	ds_read_b128 v[29:32], v14 offset:16
	ds_read_b128 v[33:36], v14 offset:32
	;; [unrolled: 1-line block ×3, first 2 shown]
	ds_read2_b64 v[41:44], v17 offset0:32 offset1:48
	s_waitcnt lgkmcnt(4)
	v_fma_f32 v5, -v21, v25, v5
	v_fma_f32 v6, -v22, v25, v6
	v_fmac_f32_e32 v5, v22, v26
	v_fma_f32 v6, -v21, v26, v6
	v_fma_f32 v5, -v23, v27, v5
	v_fma_f32 v6, -v24, v27, v6
	v_fmac_f32_e32 v5, v24, v28
	v_fma_f32 v6, -v23, v28, v6
	ds_read2_b64 v[21:24], v17 offset0:64 offset1:80
	s_waitcnt lgkmcnt(1)
	v_fma_f32 v5, -v41, v29, v5
	v_fma_f32 v6, -v42, v29, v6
	v_fmac_f32_e32 v5, v42, v30
	v_fma_f32 v6, -v41, v30, v6
	v_fma_f32 v5, -v43, v31, v5
	v_fma_f32 v6, -v44, v31, v6
	v_fmac_f32_e32 v5, v44, v32
	v_fma_f32 v6, -v43, v32, v6
	;; [unrolled: 10-line block ×3, first 2 shown]
	ds_read2_b64 v[21:24], v17 offset0:128 offset1:144
	ds_read_b128 v[29:32], v14 offset:64
	s_waitcnt lgkmcnt(2)
	v_fma_f32 v5, -v25, v37, v5
	v_fma_f32 v6, -v26, v37, v6
	v_fmac_f32_e32 v5, v26, v38
	v_fma_f32 v6, -v25, v38, v6
	v_fma_f32 v5, -v27, v39, v5
	;; [unrolled: 1-line block ×3, first 2 shown]
	v_fmac_f32_e32 v5, v28, v40
	v_fma_f32 v6, -v27, v40, v6
	ds_read_b128 v[25:28], v14 offset:80
	ds_read2_b64 v[33:36], v17 offset0:160 offset1:176
	s_waitcnt lgkmcnt(2)
	v_fma_f32 v5, -v21, v29, v5
	v_fma_f32 v6, -v22, v29, v6
	v_fmac_f32_e32 v5, v22, v30
	v_fma_f32 v6, -v21, v30, v6
	v_fma_f32 v5, -v23, v31, v5
	;; [unrolled: 1-line block ×3, first 2 shown]
	v_fmac_f32_e32 v5, v24, v32
	v_fma_f32 v6, -v23, v32, v6
	ds_read2_b64 v[21:24], v17 offset0:192 offset1:208
	ds_read_b128 v[29:32], v14 offset:96
	s_waitcnt lgkmcnt(2)
	v_fma_f32 v5, -v33, v25, v5
	v_fma_f32 v6, -v34, v25, v6
	v_fmac_f32_e32 v5, v34, v26
	v_fma_f32 v6, -v33, v26, v6
	v_fma_f32 v5, -v35, v27, v5
	;; [unrolled: 1-line block ×3, first 2 shown]
	v_fmac_f32_e32 v5, v36, v28
	v_fma_f32 v6, -v35, v28, v6
	ds_read_b128 v[25:28], v14 offset:112
	ds_read2_b64 v[33:36], v17 offset0:224 offset1:240
	s_waitcnt lgkmcnt(2)
	v_fma_f32 v5, -v21, v29, v5
	v_fma_f32 v6, -v22, v29, v6
	v_fmac_f32_e32 v5, v22, v30
	v_fma_f32 v6, -v21, v30, v6
	v_fma_f32 v5, -v23, v31, v5
	;; [unrolled: 1-line block ×3, first 2 shown]
	v_fmac_f32_e32 v5, v24, v32
	v_fma_f32 v6, -v23, v32, v6
	s_waitcnt lgkmcnt(0)
	v_fma_f32 v5, -v33, v25, v5
	v_fma_f32 v6, -v34, v25, v6
	v_fmac_f32_e32 v5, v34, v26
	v_fma_f32 v6, -v33, v26, v6
	v_fma_f32 v5, -v35, v27, v5
	;; [unrolled: 1-line block ×3, first 2 shown]
	v_fmac_f32_e32 v5, v36, v28
	v_fma_f32 v6, -v35, v28, v6
	s_branch .LBB55_9
.LBB55_31:
	s_or_b64 exec, exec, s[24:25]
.LBB55_32:
	s_or_b64 exec, exec, s[22:23]
	s_cmp_gt_i32 s33, 0
	v_cmp_eq_u32_e32 vcc, v8, v1
	s_cselect_b64 s[2:3], -1, 0
	s_and_b64 s[4:5], s[2:3], vcc
	s_mov_b64 s[2:3], 0
	s_and_saveexec_b64 s[6:7], s[4:5]
	s_cbranch_execnz .LBB55_36
; %bb.33:
	s_or_b64 exec, exec, s[6:7]
	s_and_saveexec_b64 s[4:5], s[0:1]
	s_cbranch_execnz .LBB55_50
.LBB55_34:
	s_or_b64 exec, exec, s[4:5]
	v_cmp_eq_u32_e32 vcc, 0, v4
	s_and_b64 exec, exec, vcc
	s_cbranch_execnz .LBB55_51
.LBB55_35:
	s_endpgm
.LBB55_36:
	v_lshl_add_u32 v7, s33, 7, v11
	s_movk_i32 s4, 0xff80
	s_cmp_eq_u32 s9, 0
	v_add3_u32 v9, v7, v12, s4
	s_mul_i32 s4, s33, 0x88
	s_cselect_b64 s[2:3], -1, 0
	v_mbcnt_lo_u32_b32 v0, -1, 0
	v_add_u32_e32 v7, s4, v11
	v_mbcnt_hi_u32_b32 v0, -1, v0
	v_add_u32_e32 v10, 0xffffff78, v7
	v_cndmask_b32_e64 v7, 0, 1, s[2:3]
	v_and_b32_e32 v0, 64, v0
	s_add_i32 s9, s33, -1
	s_mov_b64 s[16:17], 0
	v_cmp_ne_u32_e64 s[2:3], 1, v7
                                        ; implicit-def: $sgpr10_sgpr11
	s_and_b64 vcc, exec, s[2:3]
	s_cbranch_vccz .LBB55_38
.LBB55_37:
	v_mov_b32_e32 v7, 1.0
	v_mov_b32_e32 v8, 0
	s_branch .LBB55_39
.LBB55_38:
	ds_read_b64 v[7:8], v10
.LBB55_39:
	v_and_or_b32 v11, s9, 63, v0
	v_lshlrev_b32_e32 v11, 2, v11
	ds_bpermute_b32 v12, v11, v5
	ds_bpermute_b32 v11, v11, v6
	s_waitcnt lgkmcnt(0)
	v_cmp_neq_f32_e32 vcc, 0, v7
	v_cmp_neq_f32_e64 s[4:5], 0, v8
	s_or_b64 s[18:19], vcc, s[4:5]
	s_or_b64 s[10:11], s[10:11], exec
	s_and_saveexec_b64 s[4:5], s[18:19]
	s_cbranch_execz .LBB55_41
; %bb.40:
	v_mul_f32_e32 v13, v8, v8
	v_fmac_f32_e32 v13, v7, v7
	v_div_scale_f32 v14, s[18:19], v13, v13, 1.0
	v_div_scale_f32 v15, vcc, 1.0, v13, 1.0
	s_andn2_b64 s[10:11], s[10:11], exec
	s_and_b64 s[16:17], s[16:17], exec
	s_or_b64 s[10:11], s[10:11], s[16:17]
	v_rcp_f32_e32 v16, v14
	v_fma_f32 v17, -v14, v16, 1.0
	v_fmac_f32_e32 v16, v17, v16
	v_mul_f32_e32 v17, v15, v16
	v_fma_f32 v18, -v14, v17, v15
	v_fmac_f32_e32 v17, v18, v16
	v_fma_f32 v14, -v14, v17, v15
	v_div_fmas_f32 v14, v14, v16, v17
	v_mul_f32_e32 v15, v8, v11
	v_mul_f32_e64 v8, v8, -v12
	v_fmac_f32_e32 v15, v12, v7
	v_fmac_f32_e32 v8, v11, v7
	v_div_fixup_f32 v7, v14, v13, 1.0
	v_mul_f32_e32 v12, v7, v15
	v_mul_f32_e32 v11, v7, v8
.LBB55_41:
	s_or_b64 exec, exec, s[4:5]
	s_and_saveexec_b64 s[4:5], s[0:1]
	s_cbranch_execz .LBB55_47
; %bb.42:
	v_cmp_le_i32_e32 vcc, s9, v4
	s_and_saveexec_b64 s[16:17], vcc
	s_xor_b64 s[16:17], exec, s[16:17]
; %bb.43:
	v_cmp_eq_u32_e32 vcc, s9, v4
	v_cndmask_b32_e32 v5, v5, v12, vcc
	v_cndmask_b32_e32 v6, v6, v11, vcc
                                        ; implicit-def: $vgpr12
                                        ; implicit-def: $vgpr11
; %bb.44:
	s_andn2_saveexec_b64 s[16:17], s[16:17]
	s_cbranch_execz .LBB55_46
; %bb.45:
	ds_read_b64 v[7:8], v9
	s_waitcnt lgkmcnt(0)
	v_fma_f32 v5, -v12, v7, v5
	v_fma_f32 v6, -v11, v7, v6
	v_fmac_f32_e32 v5, v11, v8
	v_fma_f32 v6, -v12, v8, v6
.LBB55_46:
	s_or_b64 exec, exec, s[16:17]
.LBB55_47:
	s_or_b64 exec, exec, s[4:5]
	s_add_i32 s4, s9, -1
	s_add_i32 s5, s9, 1
	v_add_u32_e32 v9, 0xffffff80, v9
	s_cmp_gt_u32 s5, 1
	v_add_u32_e32 v10, 0xffffff78, v10
	s_cbranch_scc0 .LBB55_49
; %bb.48:
	s_mov_b64 s[16:17], s[10:11]
	s_mov_b32 s9, s4
	s_and_b64 vcc, exec, s[2:3]
	s_cbranch_vccnz .LBB55_37
	s_branch .LBB55_38
.LBB55_49:
	s_and_b64 s[2:3], s[10:11], exec
	s_or_b64 exec, exec, s[6:7]
	s_and_saveexec_b64 s[4:5], s[0:1]
	s_cbranch_execz .LBB55_34
.LBB55_50:
	v_mad_u64_u32 v[7:8], s[0:1], v1, s33, v[4:5]
	v_mov_b32_e32 v0, s13
	v_ashrrev_i32_e32 v8, 31, v7
	v_lshlrev_b64 v[7:8], 3, v[7:8]
	v_add_co_u32_e32 v7, vcc, s12, v7
	v_addc_co_u32_e32 v8, vcc, v0, v8, vcc
	global_store_dwordx2 v[7:8], v[5:6], off
	s_or_b64 exec, exec, s[4:5]
	v_cmp_eq_u32_e32 vcc, 0, v4
	s_and_b64 exec, exec, vcc
	s_cbranch_execz .LBB55_35
.LBB55_51:
	v_mov_b32_e32 v0, s15
	v_add_co_u32_e32 v2, vcc, s14, v2
	v_addc_co_u32_e32 v3, vcc, v0, v3, vcc
	v_mov_b32_e32 v0, 1
	s_waitcnt vmcnt(0) lgkmcnt(0)
	global_store_dword v[2:3], v0, off
	s_and_b64 exec, exec, s[2:3]
	s_cbranch_execz .LBB55_35
; %bb.52:
	s_mov_b64 s[0:1], exec
	v_add_u32_e32 v0, s8, v1
	s_brev_b32 s2, -2
.LBB55_53:                              ; =>This Inner Loop Header: Depth=1
	s_ff1_i32_b64 s3, s[0:1]
	v_readlane_b32 s6, v0, s3
	s_lshl_b64 s[4:5], 1, s3
	s_min_i32 s2, s2, s6
	s_andn2_b64 s[0:1], s[0:1], s[4:5]
	s_cmp_lg_u64 s[0:1], 0
	s_cbranch_scc1 .LBB55_53
; %bb.54:
	v_mbcnt_lo_u32_b32 v0, exec_lo, 0
	v_mbcnt_hi_u32_b32 v0, exec_hi, v0
	v_cmp_eq_u32_e32 vcc, 0, v0
	s_and_saveexec_b64 s[0:1], vcc
	s_xor_b64 s[0:1], exec, s[0:1]
	s_cbranch_execz .LBB55_35
; %bb.55:
	v_mov_b32_e32 v0, 0
	v_mov_b32_e32 v1, s2
	global_atomic_smin v0, v1, s[20:21]
	s_endpgm
	.section	.rodata,"a",@progbits
	.p2align	6, 0x0
	.amdhsa_kernel _ZN9rocsparseL18bsrsv_upper_sharedILj128ELj64ELi16ELb1E21rocsparse_complex_numIfEEEviNS_24const_host_device_scalarIT3_EEPKiS7_PKS4_iS9_PS4_PiSB_SB_21rocsparse_index_base_20rocsparse_diag_type_20rocsparse_direction_b
		.amdhsa_group_segment_fixed_size 4352
		.amdhsa_private_segment_fixed_size 0
		.amdhsa_kernarg_size 104
		.amdhsa_user_sgpr_count 6
		.amdhsa_user_sgpr_private_segment_buffer 1
		.amdhsa_user_sgpr_dispatch_ptr 0
		.amdhsa_user_sgpr_queue_ptr 0
		.amdhsa_user_sgpr_kernarg_segment_ptr 1
		.amdhsa_user_sgpr_dispatch_id 0
		.amdhsa_user_sgpr_flat_scratch_init 0
		.amdhsa_user_sgpr_private_segment_size 0
		.amdhsa_uses_dynamic_stack 0
		.amdhsa_system_sgpr_private_segment_wavefront_offset 0
		.amdhsa_system_sgpr_workgroup_id_x 1
		.amdhsa_system_sgpr_workgroup_id_y 0
		.amdhsa_system_sgpr_workgroup_id_z 0
		.amdhsa_system_sgpr_workgroup_info 0
		.amdhsa_system_vgpr_workitem_id 0
		.amdhsa_next_free_vgpr 45
		.amdhsa_next_free_sgpr 61
		.amdhsa_reserve_vcc 1
		.amdhsa_reserve_flat_scratch 0
		.amdhsa_float_round_mode_32 0
		.amdhsa_float_round_mode_16_64 0
		.amdhsa_float_denorm_mode_32 3
		.amdhsa_float_denorm_mode_16_64 3
		.amdhsa_dx10_clamp 1
		.amdhsa_ieee_mode 1
		.amdhsa_fp16_overflow 0
		.amdhsa_exception_fp_ieee_invalid_op 0
		.amdhsa_exception_fp_denorm_src 0
		.amdhsa_exception_fp_ieee_div_zero 0
		.amdhsa_exception_fp_ieee_overflow 0
		.amdhsa_exception_fp_ieee_underflow 0
		.amdhsa_exception_fp_ieee_inexact 0
		.amdhsa_exception_int_div_zero 0
	.end_amdhsa_kernel
	.section	.text._ZN9rocsparseL18bsrsv_upper_sharedILj128ELj64ELi16ELb1E21rocsparse_complex_numIfEEEviNS_24const_host_device_scalarIT3_EEPKiS7_PKS4_iS9_PS4_PiSB_SB_21rocsparse_index_base_20rocsparse_diag_type_20rocsparse_direction_b,"axG",@progbits,_ZN9rocsparseL18bsrsv_upper_sharedILj128ELj64ELi16ELb1E21rocsparse_complex_numIfEEEviNS_24const_host_device_scalarIT3_EEPKiS7_PKS4_iS9_PS4_PiSB_SB_21rocsparse_index_base_20rocsparse_diag_type_20rocsparse_direction_b,comdat
.Lfunc_end55:
	.size	_ZN9rocsparseL18bsrsv_upper_sharedILj128ELj64ELi16ELb1E21rocsparse_complex_numIfEEEviNS_24const_host_device_scalarIT3_EEPKiS7_PKS4_iS9_PS4_PiSB_SB_21rocsparse_index_base_20rocsparse_diag_type_20rocsparse_direction_b, .Lfunc_end55-_ZN9rocsparseL18bsrsv_upper_sharedILj128ELj64ELi16ELb1E21rocsparse_complex_numIfEEEviNS_24const_host_device_scalarIT3_EEPKiS7_PKS4_iS9_PS4_PiSB_SB_21rocsparse_index_base_20rocsparse_diag_type_20rocsparse_direction_b
                                        ; -- End function
	.set _ZN9rocsparseL18bsrsv_upper_sharedILj128ELj64ELi16ELb1E21rocsparse_complex_numIfEEEviNS_24const_host_device_scalarIT3_EEPKiS7_PKS4_iS9_PS4_PiSB_SB_21rocsparse_index_base_20rocsparse_diag_type_20rocsparse_direction_b.num_vgpr, 45
	.set _ZN9rocsparseL18bsrsv_upper_sharedILj128ELj64ELi16ELb1E21rocsparse_complex_numIfEEEviNS_24const_host_device_scalarIT3_EEPKiS7_PKS4_iS9_PS4_PiSB_SB_21rocsparse_index_base_20rocsparse_diag_type_20rocsparse_direction_b.num_agpr, 0
	.set _ZN9rocsparseL18bsrsv_upper_sharedILj128ELj64ELi16ELb1E21rocsparse_complex_numIfEEEviNS_24const_host_device_scalarIT3_EEPKiS7_PKS4_iS9_PS4_PiSB_SB_21rocsparse_index_base_20rocsparse_diag_type_20rocsparse_direction_b.numbered_sgpr, 35
	.set _ZN9rocsparseL18bsrsv_upper_sharedILj128ELj64ELi16ELb1E21rocsparse_complex_numIfEEEviNS_24const_host_device_scalarIT3_EEPKiS7_PKS4_iS9_PS4_PiSB_SB_21rocsparse_index_base_20rocsparse_diag_type_20rocsparse_direction_b.num_named_barrier, 0
	.set _ZN9rocsparseL18bsrsv_upper_sharedILj128ELj64ELi16ELb1E21rocsparse_complex_numIfEEEviNS_24const_host_device_scalarIT3_EEPKiS7_PKS4_iS9_PS4_PiSB_SB_21rocsparse_index_base_20rocsparse_diag_type_20rocsparse_direction_b.private_seg_size, 0
	.set _ZN9rocsparseL18bsrsv_upper_sharedILj128ELj64ELi16ELb1E21rocsparse_complex_numIfEEEviNS_24const_host_device_scalarIT3_EEPKiS7_PKS4_iS9_PS4_PiSB_SB_21rocsparse_index_base_20rocsparse_diag_type_20rocsparse_direction_b.uses_vcc, 1
	.set _ZN9rocsparseL18bsrsv_upper_sharedILj128ELj64ELi16ELb1E21rocsparse_complex_numIfEEEviNS_24const_host_device_scalarIT3_EEPKiS7_PKS4_iS9_PS4_PiSB_SB_21rocsparse_index_base_20rocsparse_diag_type_20rocsparse_direction_b.uses_flat_scratch, 0
	.set _ZN9rocsparseL18bsrsv_upper_sharedILj128ELj64ELi16ELb1E21rocsparse_complex_numIfEEEviNS_24const_host_device_scalarIT3_EEPKiS7_PKS4_iS9_PS4_PiSB_SB_21rocsparse_index_base_20rocsparse_diag_type_20rocsparse_direction_b.has_dyn_sized_stack, 0
	.set _ZN9rocsparseL18bsrsv_upper_sharedILj128ELj64ELi16ELb1E21rocsparse_complex_numIfEEEviNS_24const_host_device_scalarIT3_EEPKiS7_PKS4_iS9_PS4_PiSB_SB_21rocsparse_index_base_20rocsparse_diag_type_20rocsparse_direction_b.has_recursion, 0
	.set _ZN9rocsparseL18bsrsv_upper_sharedILj128ELj64ELi16ELb1E21rocsparse_complex_numIfEEEviNS_24const_host_device_scalarIT3_EEPKiS7_PKS4_iS9_PS4_PiSB_SB_21rocsparse_index_base_20rocsparse_diag_type_20rocsparse_direction_b.has_indirect_call, 0
	.section	.AMDGPU.csdata,"",@progbits
; Kernel info:
; codeLenInByte = 2336
; TotalNumSgprs: 39
; NumVgprs: 45
; ScratchSize: 0
; MemoryBound: 0
; FloatMode: 240
; IeeeMode: 1
; LDSByteSize: 4352 bytes/workgroup (compile time only)
; SGPRBlocks: 8
; VGPRBlocks: 11
; NumSGPRsForWavesPerEU: 65
; NumVGPRsForWavesPerEU: 45
; Occupancy: 5
; WaveLimiterHint : 1
; COMPUTE_PGM_RSRC2:SCRATCH_EN: 0
; COMPUTE_PGM_RSRC2:USER_SGPR: 6
; COMPUTE_PGM_RSRC2:TRAP_HANDLER: 0
; COMPUTE_PGM_RSRC2:TGID_X_EN: 1
; COMPUTE_PGM_RSRC2:TGID_Y_EN: 0
; COMPUTE_PGM_RSRC2:TGID_Z_EN: 0
; COMPUTE_PGM_RSRC2:TIDIG_COMP_CNT: 0
	.section	.text._ZN9rocsparseL18bsrsv_upper_sharedILj128ELj64ELi16ELb0E21rocsparse_complex_numIfEEEviNS_24const_host_device_scalarIT3_EEPKiS7_PKS4_iS9_PS4_PiSB_SB_21rocsparse_index_base_20rocsparse_diag_type_20rocsparse_direction_b,"axG",@progbits,_ZN9rocsparseL18bsrsv_upper_sharedILj128ELj64ELi16ELb0E21rocsparse_complex_numIfEEEviNS_24const_host_device_scalarIT3_EEPKiS7_PKS4_iS9_PS4_PiSB_SB_21rocsparse_index_base_20rocsparse_diag_type_20rocsparse_direction_b,comdat
	.globl	_ZN9rocsparseL18bsrsv_upper_sharedILj128ELj64ELi16ELb0E21rocsparse_complex_numIfEEEviNS_24const_host_device_scalarIT3_EEPKiS7_PKS4_iS9_PS4_PiSB_SB_21rocsparse_index_base_20rocsparse_diag_type_20rocsparse_direction_b ; -- Begin function _ZN9rocsparseL18bsrsv_upper_sharedILj128ELj64ELi16ELb0E21rocsparse_complex_numIfEEEviNS_24const_host_device_scalarIT3_EEPKiS7_PKS4_iS9_PS4_PiSB_SB_21rocsparse_index_base_20rocsparse_diag_type_20rocsparse_direction_b
	.p2align	8
	.type	_ZN9rocsparseL18bsrsv_upper_sharedILj128ELj64ELi16ELb0E21rocsparse_complex_numIfEEEviNS_24const_host_device_scalarIT3_EEPKiS7_PKS4_iS9_PS4_PiSB_SB_21rocsparse_index_base_20rocsparse_diag_type_20rocsparse_direction_b,@function
_ZN9rocsparseL18bsrsv_upper_sharedILj128ELj64ELi16ELb0E21rocsparse_complex_numIfEEEviNS_24const_host_device_scalarIT3_EEPKiS7_PKS4_iS9_PS4_PiSB_SB_21rocsparse_index_base_20rocsparse_diag_type_20rocsparse_direction_b: ; @_ZN9rocsparseL18bsrsv_upper_sharedILj128ELj64ELi16ELb0E21rocsparse_complex_numIfEEEviNS_24const_host_device_scalarIT3_EEPKiS7_PKS4_iS9_PS4_PiSB_SB_21rocsparse_index_base_20rocsparse_diag_type_20rocsparse_direction_b
; %bb.0:
	s_load_dwordx4 s[8:11], s[4:5], 0x58
	s_load_dwordx2 s[2:3], s[4:5], 0x8
	s_waitcnt lgkmcnt(0)
	s_bitcmp1_b32 s11, 0
	s_cselect_b64 s[12:13], -1, 0
	s_xor_b64 s[0:1], s[12:13], -1
	s_and_b64 vcc, exec, s[12:13]
	s_mov_b32 s11, s2
	s_cbranch_vccnz .LBB56_2
; %bb.1:
	s_load_dword s11, s[2:3], 0x0
.LBB56_2:
	s_andn2_b64 vcc, exec, s[0:1]
	s_cbranch_vccnz .LBB56_4
; %bb.3:
	s_load_dword s3, s[2:3], 0x4
.LBB56_4:
	s_nop 0
	s_load_dword s2, s[4:5], 0x0
	s_lshl_b32 s0, s6, 1
	v_lshrrev_b32_e32 v10, 6, v0
	s_and_b32 s0, s0, 0x3fffffe
	v_or_b32_e32 v1, s0, v10
	s_waitcnt lgkmcnt(0)
	v_cmp_gt_i32_e32 vcc, s2, v1
	s_and_saveexec_b64 s[0:1], vcc
	s_cbranch_execz .LBB56_33
; %bb.5:
	s_load_dwordx2 s[0:1], s[4:5], 0x48
	s_load_dwordx4 s[12:15], s[4:5], 0x38
	v_lshlrev_b32_e32 v1, 2, v1
	v_mov_b32_e32 v8, 0
	v_mov_b32_e32 v9, 0
	s_waitcnt lgkmcnt(0)
	global_load_dword v1, v1, s[0:1]
	s_load_dwordx2 s[0:1], s[4:5], 0x10
	s_load_dword s33, s[4:5], 0x28
	s_waitcnt lgkmcnt(0)
	v_mov_b32_e32 v5, s1
	s_waitcnt vmcnt(0)
	v_ashrrev_i32_e32 v2, 31, v1
	v_lshlrev_b64 v[2:3], 2, v[1:2]
	v_add_co_u32_e32 v4, vcc, s0, v2
	v_addc_co_u32_e32 v5, vcc, v5, v3, vcc
	global_load_dwordx2 v[6:7], v[4:5], off
	v_and_b32_e32 v4, 63, v0
	v_cmp_gt_i32_e64 s[0:1], s33, v4
	s_and_saveexec_b64 s[6:7], s[0:1]
	s_cbranch_execz .LBB56_7
; %bb.6:
	v_mad_u64_u32 v[8:9], s[16:17], v1, s33, v[4:5]
	s_load_dwordx2 s[16:17], s[4:5], 0x30
	v_ashrrev_i32_e32 v9, 31, v8
	v_lshlrev_b64 v[8:9], 3, v[8:9]
	s_waitcnt lgkmcnt(0)
	v_mov_b32_e32 v5, s17
	v_add_co_u32_e32 v8, vcc, s16, v8
	v_addc_co_u32_e32 v9, vcc, v5, v9, vcc
	global_load_dwordx2 v[8:9], v[8:9], off
.LBB56_7:
	s_or_b64 exec, exec, s[6:7]
	s_load_dwordx2 s[20:21], s[4:5], 0x50
	s_waitcnt vmcnt(0)
	v_subrev_u32_e32 v13, s8, v6
	v_mul_f32_e64 v5, v9, -s3
	v_mul_f32_e32 v6, s11, v9
	v_xad_u32 v7, s8, -1, v7
	v_fmac_f32_e32 v5, s11, v8
	v_fmac_f32_e32 v6, s3, v8
	v_lshlrev_b32_e32 v11, 11, v10
	v_cmp_ge_i32_e32 vcc, v7, v13
	v_mov_b32_e32 v8, s2
	v_lshlrev_b32_e32 v12, 3, v4
	s_and_saveexec_b64 s[22:23], vcc
	s_cbranch_execz .LBB56_30
; %bb.8:
	v_mov_b32_e32 v8, 0x1000
	v_and_b32_e32 v0, 15, v0
	s_load_dwordx4 s[16:19], s[4:5], 0x18
	v_lshl_or_b32 v14, v10, 7, v8
	v_mad_u64_u32 v[8:9], s[4:5], s33, v7, v[0:1]
	v_lshrrev_b32_e32 v15, 4, v4
	s_cmp_lg_u32 s10, 0
	v_mul_lo_u32 v18, s33, v8
	v_lshlrev_b32_e32 v8, 7, v15
	v_lshlrev_b32_e32 v9, 3, v0
	v_cmp_gt_i32_e64 s[2:3], s33, v0
	s_cselect_b64 s[10:11], -1, 0
	v_cmp_gt_u32_e64 s[4:5], 16, v4
	v_add_u32_e32 v16, v14, v12
	v_add_u32_e32 v17, v11, v12
	s_mul_i32 s34, s33, s33
	v_add3_u32 v19, v11, v8, v9
	s_mov_b64 s[24:25], 0
	s_waitcnt lgkmcnt(0)
	v_mov_b32_e32 v20, s17
	s_branch .LBB56_11
.LBB56_9:                               ;   in Loop: Header=BB56_11 Depth=1
	s_or_b64 exec, exec, s[6:7]
.LBB56_10:                              ;   in Loop: Header=BB56_11 Depth=1
	s_or_b64 exec, exec, s[26:27]
	v_cmp_le_i32_e64 s[6:7], v7, v13
	s_xor_b64 s[26:27], vcc, -1
	s_or_b64 s[6:7], s[26:27], s[6:7]
	v_add_u32_e32 v9, -1, v7
	s_and_b64 s[6:7], exec, s[6:7]
	v_subrev_u32_e32 v18, s34, v18
	s_or_b64 s[24:25], s[6:7], s[24:25]
	v_mov_b32_e32 v7, v9
	s_andn2_b64 exec, exec, s[24:25]
	s_cbranch_execz .LBB56_29
.LBB56_11:                              ; =>This Loop Header: Depth=1
                                        ;     Child Loop BB56_14 Depth 2
                                        ;     Child Loop BB56_22 Depth 2
	v_ashrrev_i32_e32 v8, 31, v7
	v_lshlrev_b64 v[8:9], 2, v[7:8]
	v_mul_lo_u32 v21, v7, s33
	v_add_co_u32_e32 v8, vcc, s16, v8
	v_addc_co_u32_e32 v9, vcc, v20, v9, vcc
	global_load_dword v10, v[8:9], off
	s_mov_b64 s[6:7], 0
	v_mov_b32_e32 v22, v19
	v_mov_b32_e32 v23, v15
	s_branch .LBB56_14
.LBB56_12:                              ;   in Loop: Header=BB56_14 Depth=2
	v_ashrrev_i32_e32 v9, 31, v8
	v_lshlrev_b64 v[8:9], 3, v[8:9]
	v_mov_b32_e32 v24, s19
	v_add_co_u32_e32 v8, vcc, s18, v8
	v_addc_co_u32_e32 v9, vcc, v24, v9, vcc
	global_load_dwordx2 v[8:9], v[8:9], off
.LBB56_13:                              ;   in Loop: Header=BB56_14 Depth=2
	s_or_b64 exec, exec, s[26:27]
	s_waitcnt vmcnt(0)
	ds_write_b64 v22, v[8:9]
	v_add_u32_e32 v8, 4, v23
	v_cmp_lt_u32_e32 vcc, 11, v23
	v_add_u32_e32 v22, 0x200, v22
	s_or_b64 s[6:7], vcc, s[6:7]
	v_mov_b32_e32 v23, v8
	s_andn2_b64 exec, exec, s[6:7]
	s_cbranch_execz .LBB56_19
.LBB56_14:                              ;   Parent Loop BB56_11 Depth=1
                                        ; =>  This Inner Loop Header: Depth=2
	v_cmp_gt_i32_e32 vcc, s33, v23
	s_and_b64 s[28:29], s[2:3], vcc
	v_mov_b32_e32 v8, 0
	v_mov_b32_e32 v9, 0
	s_and_saveexec_b64 s[26:27], s[28:29]
	s_cbranch_execz .LBB56_13
; %bb.15:                               ;   in Loop: Header=BB56_14 Depth=2
	s_and_b64 vcc, exec, s[10:11]
	s_cbranch_vccz .LBB56_17
; %bb.16:                               ;   in Loop: Header=BB56_14 Depth=2
	v_add_u32_e32 v8, v23, v21
	v_mad_u64_u32 v[8:9], s[28:29], v8, s33, v[0:1]
	s_cbranch_execnz .LBB56_12
	s_branch .LBB56_18
.LBB56_17:                              ;   in Loop: Header=BB56_14 Depth=2
                                        ; implicit-def: $vgpr8
.LBB56_18:                              ;   in Loop: Header=BB56_14 Depth=2
	v_add_u32_e32 v8, v18, v23
	s_branch .LBB56_12
.LBB56_19:                              ;   in Loop: Header=BB56_11 Depth=1
	s_or_b64 exec, exec, s[6:7]
	v_subrev_u32_e32 v8, s8, v10
	v_cmp_gt_i32_e32 vcc, v8, v1
	s_and_saveexec_b64 s[26:27], vcc
	s_cbranch_execz .LBB56_10
; %bb.20:                               ;   in Loop: Header=BB56_11 Depth=1
	v_ashrrev_i32_e32 v9, 31, v8
	v_lshlrev_b64 v[9:10], 2, v[8:9]
	v_mov_b32_e32 v21, s15
	v_add_co_u32_e64 v9, s[6:7], s14, v9
	v_addc_co_u32_e64 v10, s[6:7], v21, v10, s[6:7]
	global_load_dword v21, v[9:10], off glc
	s_waitcnt vmcnt(0)
	v_cmp_eq_u32_e64 s[6:7], 0, v21
	s_and_saveexec_b64 s[28:29], s[6:7]
	s_cbranch_execz .LBB56_23
; %bb.21:                               ;   in Loop: Header=BB56_11 Depth=1
	s_mov_b64 s[30:31], 0
.LBB56_22:                              ;   Parent Loop BB56_11 Depth=1
                                        ; =>  This Inner Loop Header: Depth=2
	global_load_dword v21, v[9:10], off glc
	s_waitcnt vmcnt(0)
	v_cmp_ne_u32_e64 s[6:7], 0, v21
	s_or_b64 s[30:31], s[6:7], s[30:31]
	s_andn2_b64 exec, exec, s[30:31]
	s_cbranch_execnz .LBB56_22
.LBB56_23:                              ;   in Loop: Header=BB56_11 Depth=1
	s_or_b64 exec, exec, s[28:29]
	s_waitcnt lgkmcnt(0)
	buffer_wbinvl1_vol
	s_and_saveexec_b64 s[28:29], s[4:5]
	s_cbranch_execz .LBB56_27
; %bb.24:                               ;   in Loop: Header=BB56_11 Depth=1
	v_mov_b32_e32 v10, 0
	v_mov_b32_e32 v9, 0
	s_and_saveexec_b64 s[30:31], s[0:1]
	s_cbranch_execz .LBB56_26
; %bb.25:                               ;   in Loop: Header=BB56_11 Depth=1
	v_mad_u64_u32 v[9:10], s[6:7], v8, s33, v[4:5]
	v_mov_b32_e32 v21, s13
	v_ashrrev_i32_e32 v10, 31, v9
	v_lshlrev_b64 v[9:10], 3, v[9:10]
	v_add_co_u32_e64 v9, s[6:7], s12, v9
	v_addc_co_u32_e64 v10, s[6:7], v21, v10, s[6:7]
	global_load_dwordx2 v[9:10], v[9:10], off
.LBB56_26:                              ;   in Loop: Header=BB56_11 Depth=1
	s_or_b64 exec, exec, s[30:31]
	s_waitcnt vmcnt(0)
	ds_write_b64 v16, v[9:10]
.LBB56_27:                              ;   in Loop: Header=BB56_11 Depth=1
	s_or_b64 exec, exec, s[28:29]
	s_waitcnt lgkmcnt(0)
	s_and_saveexec_b64 s[6:7], s[0:1]
	s_cbranch_execz .LBB56_9
; %bb.28:                               ;   in Loop: Header=BB56_11 Depth=1
	ds_read2_b64 v[21:24], v17 offset1:16
	ds_read_b128 v[25:28], v14
	ds_read_b128 v[29:32], v14 offset:16
	ds_read_b128 v[33:36], v14 offset:32
	;; [unrolled: 1-line block ×3, first 2 shown]
	ds_read2_b64 v[41:44], v17 offset0:32 offset1:48
	s_waitcnt lgkmcnt(4)
	v_fma_f32 v5, -v21, v25, v5
	v_fma_f32 v6, -v22, v25, v6
	v_fmac_f32_e32 v5, v22, v26
	v_fma_f32 v6, -v21, v26, v6
	v_fma_f32 v5, -v23, v27, v5
	v_fma_f32 v6, -v24, v27, v6
	v_fmac_f32_e32 v5, v24, v28
	v_fma_f32 v6, -v23, v28, v6
	ds_read2_b64 v[21:24], v17 offset0:64 offset1:80
	s_waitcnt lgkmcnt(1)
	v_fma_f32 v5, -v41, v29, v5
	v_fma_f32 v6, -v42, v29, v6
	v_fmac_f32_e32 v5, v42, v30
	v_fma_f32 v6, -v41, v30, v6
	v_fma_f32 v5, -v43, v31, v5
	v_fma_f32 v6, -v44, v31, v6
	v_fmac_f32_e32 v5, v44, v32
	v_fma_f32 v6, -v43, v32, v6
	;; [unrolled: 10-line block ×3, first 2 shown]
	ds_read2_b64 v[21:24], v17 offset0:128 offset1:144
	ds_read_b128 v[29:32], v14 offset:64
	s_waitcnt lgkmcnt(2)
	v_fma_f32 v5, -v25, v37, v5
	v_fma_f32 v6, -v26, v37, v6
	v_fmac_f32_e32 v5, v26, v38
	v_fma_f32 v6, -v25, v38, v6
	v_fma_f32 v5, -v27, v39, v5
	;; [unrolled: 1-line block ×3, first 2 shown]
	v_fmac_f32_e32 v5, v28, v40
	v_fma_f32 v6, -v27, v40, v6
	ds_read_b128 v[25:28], v14 offset:80
	ds_read2_b64 v[33:36], v17 offset0:160 offset1:176
	s_waitcnt lgkmcnt(2)
	v_fma_f32 v5, -v21, v29, v5
	v_fma_f32 v6, -v22, v29, v6
	v_fmac_f32_e32 v5, v22, v30
	v_fma_f32 v6, -v21, v30, v6
	v_fma_f32 v5, -v23, v31, v5
	;; [unrolled: 1-line block ×3, first 2 shown]
	v_fmac_f32_e32 v5, v24, v32
	v_fma_f32 v6, -v23, v32, v6
	ds_read2_b64 v[21:24], v17 offset0:192 offset1:208
	ds_read_b128 v[29:32], v14 offset:96
	s_waitcnt lgkmcnt(2)
	v_fma_f32 v5, -v33, v25, v5
	v_fma_f32 v6, -v34, v25, v6
	v_fmac_f32_e32 v5, v34, v26
	v_fma_f32 v6, -v33, v26, v6
	v_fma_f32 v5, -v35, v27, v5
	;; [unrolled: 1-line block ×3, first 2 shown]
	v_fmac_f32_e32 v5, v36, v28
	v_fma_f32 v6, -v35, v28, v6
	ds_read_b128 v[25:28], v14 offset:112
	ds_read2_b64 v[33:36], v17 offset0:224 offset1:240
	s_waitcnt lgkmcnt(2)
	v_fma_f32 v5, -v21, v29, v5
	v_fma_f32 v6, -v22, v29, v6
	v_fmac_f32_e32 v5, v22, v30
	v_fma_f32 v6, -v21, v30, v6
	v_fma_f32 v5, -v23, v31, v5
	v_fma_f32 v6, -v24, v31, v6
	v_fmac_f32_e32 v5, v24, v32
	v_fma_f32 v6, -v23, v32, v6
	s_waitcnt lgkmcnt(0)
	v_fma_f32 v5, -v33, v25, v5
	v_fma_f32 v6, -v34, v25, v6
	v_fmac_f32_e32 v5, v34, v26
	v_fma_f32 v6, -v33, v26, v6
	v_fma_f32 v5, -v35, v27, v5
	;; [unrolled: 1-line block ×3, first 2 shown]
	v_fmac_f32_e32 v5, v36, v28
	v_fma_f32 v6, -v35, v28, v6
	s_branch .LBB56_9
.LBB56_29:
	s_or_b64 exec, exec, s[24:25]
.LBB56_30:
	s_or_b64 exec, exec, s[22:23]
	s_cmp_gt_i32 s33, 0
	v_cmp_eq_u32_e32 vcc, v8, v1
	s_cselect_b64 s[2:3], -1, 0
	s_and_b64 s[4:5], s[2:3], vcc
	s_mov_b64 s[2:3], 0
	s_and_saveexec_b64 s[6:7], s[4:5]
	s_cbranch_execnz .LBB56_34
; %bb.31:
	s_or_b64 exec, exec, s[6:7]
	s_and_saveexec_b64 s[4:5], s[0:1]
	s_cbranch_execnz .LBB56_48
.LBB56_32:
	s_or_b64 exec, exec, s[4:5]
	v_cmp_eq_u32_e32 vcc, 0, v4
	s_and_b64 exec, exec, vcc
	s_cbranch_execnz .LBB56_49
.LBB56_33:
	s_endpgm
.LBB56_34:
	v_lshl_add_u32 v7, s33, 7, v11
	s_movk_i32 s4, 0xff80
	s_cmp_eq_u32 s9, 0
	v_add3_u32 v9, v7, v12, s4
	s_mul_i32 s4, s33, 0x88
	s_cselect_b64 s[2:3], -1, 0
	v_mbcnt_lo_u32_b32 v0, -1, 0
	v_add_u32_e32 v7, s4, v11
	v_mbcnt_hi_u32_b32 v0, -1, v0
	v_add_u32_e32 v10, 0xffffff78, v7
	v_cndmask_b32_e64 v7, 0, 1, s[2:3]
	v_and_b32_e32 v0, 64, v0
	s_add_i32 s9, s33, -1
	s_mov_b64 s[16:17], 0
	v_cmp_ne_u32_e64 s[2:3], 1, v7
                                        ; implicit-def: $sgpr10_sgpr11
	s_and_b64 vcc, exec, s[2:3]
	s_cbranch_vccz .LBB56_36
.LBB56_35:
	v_mov_b32_e32 v7, 1.0
	v_mov_b32_e32 v8, 0
	s_branch .LBB56_37
.LBB56_36:
	ds_read_b64 v[7:8], v10
.LBB56_37:
	v_and_or_b32 v11, s9, 63, v0
	v_lshlrev_b32_e32 v11, 2, v11
	ds_bpermute_b32 v12, v11, v5
	ds_bpermute_b32 v11, v11, v6
	s_waitcnt lgkmcnt(0)
	v_cmp_neq_f32_e32 vcc, 0, v7
	v_cmp_neq_f32_e64 s[4:5], 0, v8
	s_or_b64 s[18:19], vcc, s[4:5]
	s_or_b64 s[10:11], s[10:11], exec
	s_and_saveexec_b64 s[4:5], s[18:19]
	s_cbranch_execz .LBB56_39
; %bb.38:
	v_mul_f32_e32 v13, v8, v8
	v_fmac_f32_e32 v13, v7, v7
	v_div_scale_f32 v14, s[18:19], v13, v13, 1.0
	v_div_scale_f32 v15, vcc, 1.0, v13, 1.0
	s_andn2_b64 s[10:11], s[10:11], exec
	s_and_b64 s[16:17], s[16:17], exec
	s_or_b64 s[10:11], s[10:11], s[16:17]
	v_rcp_f32_e32 v16, v14
	v_fma_f32 v17, -v14, v16, 1.0
	v_fmac_f32_e32 v16, v17, v16
	v_mul_f32_e32 v17, v15, v16
	v_fma_f32 v18, -v14, v17, v15
	v_fmac_f32_e32 v17, v18, v16
	v_fma_f32 v14, -v14, v17, v15
	v_div_fmas_f32 v14, v14, v16, v17
	v_mul_f32_e32 v15, v8, v11
	v_mul_f32_e64 v8, v8, -v12
	v_fmac_f32_e32 v15, v12, v7
	v_fmac_f32_e32 v8, v11, v7
	v_div_fixup_f32 v7, v14, v13, 1.0
	v_mul_f32_e32 v12, v7, v15
	v_mul_f32_e32 v11, v7, v8
.LBB56_39:
	s_or_b64 exec, exec, s[4:5]
	s_and_saveexec_b64 s[4:5], s[0:1]
	s_cbranch_execz .LBB56_45
; %bb.40:
	v_cmp_le_i32_e32 vcc, s9, v4
	s_and_saveexec_b64 s[16:17], vcc
	s_xor_b64 s[16:17], exec, s[16:17]
; %bb.41:
	v_cmp_eq_u32_e32 vcc, s9, v4
	v_cndmask_b32_e32 v5, v5, v12, vcc
	v_cndmask_b32_e32 v6, v6, v11, vcc
                                        ; implicit-def: $vgpr12
                                        ; implicit-def: $vgpr11
; %bb.42:
	s_andn2_saveexec_b64 s[16:17], s[16:17]
	s_cbranch_execz .LBB56_44
; %bb.43:
	ds_read_b64 v[7:8], v9
	s_waitcnt lgkmcnt(0)
	v_fma_f32 v5, -v12, v7, v5
	v_fma_f32 v6, -v11, v7, v6
	v_fmac_f32_e32 v5, v11, v8
	v_fma_f32 v6, -v12, v8, v6
.LBB56_44:
	s_or_b64 exec, exec, s[16:17]
.LBB56_45:
	s_or_b64 exec, exec, s[4:5]
	s_add_i32 s4, s9, -1
	s_add_i32 s5, s9, 1
	v_add_u32_e32 v9, 0xffffff80, v9
	s_cmp_gt_u32 s5, 1
	v_add_u32_e32 v10, 0xffffff78, v10
	s_cbranch_scc0 .LBB56_47
; %bb.46:
	s_mov_b64 s[16:17], s[10:11]
	s_mov_b32 s9, s4
	s_and_b64 vcc, exec, s[2:3]
	s_cbranch_vccnz .LBB56_35
	s_branch .LBB56_36
.LBB56_47:
	s_and_b64 s[2:3], s[10:11], exec
	s_or_b64 exec, exec, s[6:7]
	s_and_saveexec_b64 s[4:5], s[0:1]
	s_cbranch_execz .LBB56_32
.LBB56_48:
	v_mad_u64_u32 v[7:8], s[0:1], v1, s33, v[4:5]
	v_mov_b32_e32 v0, s13
	v_ashrrev_i32_e32 v8, 31, v7
	v_lshlrev_b64 v[7:8], 3, v[7:8]
	v_add_co_u32_e32 v7, vcc, s12, v7
	v_addc_co_u32_e32 v8, vcc, v0, v8, vcc
	global_store_dwordx2 v[7:8], v[5:6], off
	s_or_b64 exec, exec, s[4:5]
	v_cmp_eq_u32_e32 vcc, 0, v4
	s_and_b64 exec, exec, vcc
	s_cbranch_execz .LBB56_33
.LBB56_49:
	v_mov_b32_e32 v0, s15
	v_add_co_u32_e32 v2, vcc, s14, v2
	v_addc_co_u32_e32 v3, vcc, v0, v3, vcc
	v_mov_b32_e32 v0, 1
	s_waitcnt vmcnt(0) lgkmcnt(0)
	global_store_dword v[2:3], v0, off
	s_and_b64 exec, exec, s[2:3]
	s_cbranch_execz .LBB56_33
; %bb.50:
	s_mov_b64 s[0:1], exec
	v_add_u32_e32 v0, s8, v1
	s_brev_b32 s2, -2
.LBB56_51:                              ; =>This Inner Loop Header: Depth=1
	s_ff1_i32_b64 s3, s[0:1]
	v_readlane_b32 s6, v0, s3
	s_lshl_b64 s[4:5], 1, s3
	s_min_i32 s2, s2, s6
	s_andn2_b64 s[0:1], s[0:1], s[4:5]
	s_cmp_lg_u64 s[0:1], 0
	s_cbranch_scc1 .LBB56_51
; %bb.52:
	v_mbcnt_lo_u32_b32 v0, exec_lo, 0
	v_mbcnt_hi_u32_b32 v0, exec_hi, v0
	v_cmp_eq_u32_e32 vcc, 0, v0
	s_and_saveexec_b64 s[0:1], vcc
	s_xor_b64 s[0:1], exec, s[0:1]
	s_cbranch_execz .LBB56_33
; %bb.53:
	v_mov_b32_e32 v0, 0
	v_mov_b32_e32 v1, s2
	global_atomic_smin v0, v1, s[20:21]
	s_endpgm
	.section	.rodata,"a",@progbits
	.p2align	6, 0x0
	.amdhsa_kernel _ZN9rocsparseL18bsrsv_upper_sharedILj128ELj64ELi16ELb0E21rocsparse_complex_numIfEEEviNS_24const_host_device_scalarIT3_EEPKiS7_PKS4_iS9_PS4_PiSB_SB_21rocsparse_index_base_20rocsparse_diag_type_20rocsparse_direction_b
		.amdhsa_group_segment_fixed_size 4352
		.amdhsa_private_segment_fixed_size 0
		.amdhsa_kernarg_size 104
		.amdhsa_user_sgpr_count 6
		.amdhsa_user_sgpr_private_segment_buffer 1
		.amdhsa_user_sgpr_dispatch_ptr 0
		.amdhsa_user_sgpr_queue_ptr 0
		.amdhsa_user_sgpr_kernarg_segment_ptr 1
		.amdhsa_user_sgpr_dispatch_id 0
		.amdhsa_user_sgpr_flat_scratch_init 0
		.amdhsa_user_sgpr_private_segment_size 0
		.amdhsa_uses_dynamic_stack 0
		.amdhsa_system_sgpr_private_segment_wavefront_offset 0
		.amdhsa_system_sgpr_workgroup_id_x 1
		.amdhsa_system_sgpr_workgroup_id_y 0
		.amdhsa_system_sgpr_workgroup_id_z 0
		.amdhsa_system_sgpr_workgroup_info 0
		.amdhsa_system_vgpr_workitem_id 0
		.amdhsa_next_free_vgpr 45
		.amdhsa_next_free_sgpr 61
		.amdhsa_reserve_vcc 1
		.amdhsa_reserve_flat_scratch 0
		.amdhsa_float_round_mode_32 0
		.amdhsa_float_round_mode_16_64 0
		.amdhsa_float_denorm_mode_32 3
		.amdhsa_float_denorm_mode_16_64 3
		.amdhsa_dx10_clamp 1
		.amdhsa_ieee_mode 1
		.amdhsa_fp16_overflow 0
		.amdhsa_exception_fp_ieee_invalid_op 0
		.amdhsa_exception_fp_denorm_src 0
		.amdhsa_exception_fp_ieee_div_zero 0
		.amdhsa_exception_fp_ieee_overflow 0
		.amdhsa_exception_fp_ieee_underflow 0
		.amdhsa_exception_fp_ieee_inexact 0
		.amdhsa_exception_int_div_zero 0
	.end_amdhsa_kernel
	.section	.text._ZN9rocsparseL18bsrsv_upper_sharedILj128ELj64ELi16ELb0E21rocsparse_complex_numIfEEEviNS_24const_host_device_scalarIT3_EEPKiS7_PKS4_iS9_PS4_PiSB_SB_21rocsparse_index_base_20rocsparse_diag_type_20rocsparse_direction_b,"axG",@progbits,_ZN9rocsparseL18bsrsv_upper_sharedILj128ELj64ELi16ELb0E21rocsparse_complex_numIfEEEviNS_24const_host_device_scalarIT3_EEPKiS7_PKS4_iS9_PS4_PiSB_SB_21rocsparse_index_base_20rocsparse_diag_type_20rocsparse_direction_b,comdat
.Lfunc_end56:
	.size	_ZN9rocsparseL18bsrsv_upper_sharedILj128ELj64ELi16ELb0E21rocsparse_complex_numIfEEEviNS_24const_host_device_scalarIT3_EEPKiS7_PKS4_iS9_PS4_PiSB_SB_21rocsparse_index_base_20rocsparse_diag_type_20rocsparse_direction_b, .Lfunc_end56-_ZN9rocsparseL18bsrsv_upper_sharedILj128ELj64ELi16ELb0E21rocsparse_complex_numIfEEEviNS_24const_host_device_scalarIT3_EEPKiS7_PKS4_iS9_PS4_PiSB_SB_21rocsparse_index_base_20rocsparse_diag_type_20rocsparse_direction_b
                                        ; -- End function
	.set _ZN9rocsparseL18bsrsv_upper_sharedILj128ELj64ELi16ELb0E21rocsparse_complex_numIfEEEviNS_24const_host_device_scalarIT3_EEPKiS7_PKS4_iS9_PS4_PiSB_SB_21rocsparse_index_base_20rocsparse_diag_type_20rocsparse_direction_b.num_vgpr, 45
	.set _ZN9rocsparseL18bsrsv_upper_sharedILj128ELj64ELi16ELb0E21rocsparse_complex_numIfEEEviNS_24const_host_device_scalarIT3_EEPKiS7_PKS4_iS9_PS4_PiSB_SB_21rocsparse_index_base_20rocsparse_diag_type_20rocsparse_direction_b.num_agpr, 0
	.set _ZN9rocsparseL18bsrsv_upper_sharedILj128ELj64ELi16ELb0E21rocsparse_complex_numIfEEEviNS_24const_host_device_scalarIT3_EEPKiS7_PKS4_iS9_PS4_PiSB_SB_21rocsparse_index_base_20rocsparse_diag_type_20rocsparse_direction_b.numbered_sgpr, 35
	.set _ZN9rocsparseL18bsrsv_upper_sharedILj128ELj64ELi16ELb0E21rocsparse_complex_numIfEEEviNS_24const_host_device_scalarIT3_EEPKiS7_PKS4_iS9_PS4_PiSB_SB_21rocsparse_index_base_20rocsparse_diag_type_20rocsparse_direction_b.num_named_barrier, 0
	.set _ZN9rocsparseL18bsrsv_upper_sharedILj128ELj64ELi16ELb0E21rocsparse_complex_numIfEEEviNS_24const_host_device_scalarIT3_EEPKiS7_PKS4_iS9_PS4_PiSB_SB_21rocsparse_index_base_20rocsparse_diag_type_20rocsparse_direction_b.private_seg_size, 0
	.set _ZN9rocsparseL18bsrsv_upper_sharedILj128ELj64ELi16ELb0E21rocsparse_complex_numIfEEEviNS_24const_host_device_scalarIT3_EEPKiS7_PKS4_iS9_PS4_PiSB_SB_21rocsparse_index_base_20rocsparse_diag_type_20rocsparse_direction_b.uses_vcc, 1
	.set _ZN9rocsparseL18bsrsv_upper_sharedILj128ELj64ELi16ELb0E21rocsparse_complex_numIfEEEviNS_24const_host_device_scalarIT3_EEPKiS7_PKS4_iS9_PS4_PiSB_SB_21rocsparse_index_base_20rocsparse_diag_type_20rocsparse_direction_b.uses_flat_scratch, 0
	.set _ZN9rocsparseL18bsrsv_upper_sharedILj128ELj64ELi16ELb0E21rocsparse_complex_numIfEEEviNS_24const_host_device_scalarIT3_EEPKiS7_PKS4_iS9_PS4_PiSB_SB_21rocsparse_index_base_20rocsparse_diag_type_20rocsparse_direction_b.has_dyn_sized_stack, 0
	.set _ZN9rocsparseL18bsrsv_upper_sharedILj128ELj64ELi16ELb0E21rocsparse_complex_numIfEEEviNS_24const_host_device_scalarIT3_EEPKiS7_PKS4_iS9_PS4_PiSB_SB_21rocsparse_index_base_20rocsparse_diag_type_20rocsparse_direction_b.has_recursion, 0
	.set _ZN9rocsparseL18bsrsv_upper_sharedILj128ELj64ELi16ELb0E21rocsparse_complex_numIfEEEviNS_24const_host_device_scalarIT3_EEPKiS7_PKS4_iS9_PS4_PiSB_SB_21rocsparse_index_base_20rocsparse_diag_type_20rocsparse_direction_b.has_indirect_call, 0
	.section	.AMDGPU.csdata,"",@progbits
; Kernel info:
; codeLenInByte = 2280
; TotalNumSgprs: 39
; NumVgprs: 45
; ScratchSize: 0
; MemoryBound: 0
; FloatMode: 240
; IeeeMode: 1
; LDSByteSize: 4352 bytes/workgroup (compile time only)
; SGPRBlocks: 8
; VGPRBlocks: 11
; NumSGPRsForWavesPerEU: 65
; NumVGPRsForWavesPerEU: 45
; Occupancy: 5
; WaveLimiterHint : 1
; COMPUTE_PGM_RSRC2:SCRATCH_EN: 0
; COMPUTE_PGM_RSRC2:USER_SGPR: 6
; COMPUTE_PGM_RSRC2:TRAP_HANDLER: 0
; COMPUTE_PGM_RSRC2:TGID_X_EN: 1
; COMPUTE_PGM_RSRC2:TGID_Y_EN: 0
; COMPUTE_PGM_RSRC2:TGID_Z_EN: 0
; COMPUTE_PGM_RSRC2:TIDIG_COMP_CNT: 0
	.section	.text._ZN9rocsparseL18bsrsv_lower_sharedILj128ELj64ELi32ELb1E21rocsparse_complex_numIfEEEviNS_24const_host_device_scalarIT3_EEPKiS7_PKS4_iS9_PS4_PiSB_SB_21rocsparse_index_base_20rocsparse_diag_type_20rocsparse_direction_b,"axG",@progbits,_ZN9rocsparseL18bsrsv_lower_sharedILj128ELj64ELi32ELb1E21rocsparse_complex_numIfEEEviNS_24const_host_device_scalarIT3_EEPKiS7_PKS4_iS9_PS4_PiSB_SB_21rocsparse_index_base_20rocsparse_diag_type_20rocsparse_direction_b,comdat
	.globl	_ZN9rocsparseL18bsrsv_lower_sharedILj128ELj64ELi32ELb1E21rocsparse_complex_numIfEEEviNS_24const_host_device_scalarIT3_EEPKiS7_PKS4_iS9_PS4_PiSB_SB_21rocsparse_index_base_20rocsparse_diag_type_20rocsparse_direction_b ; -- Begin function _ZN9rocsparseL18bsrsv_lower_sharedILj128ELj64ELi32ELb1E21rocsparse_complex_numIfEEEviNS_24const_host_device_scalarIT3_EEPKiS7_PKS4_iS9_PS4_PiSB_SB_21rocsparse_index_base_20rocsparse_diag_type_20rocsparse_direction_b
	.p2align	8
	.type	_ZN9rocsparseL18bsrsv_lower_sharedILj128ELj64ELi32ELb1E21rocsparse_complex_numIfEEEviNS_24const_host_device_scalarIT3_EEPKiS7_PKS4_iS9_PS4_PiSB_SB_21rocsparse_index_base_20rocsparse_diag_type_20rocsparse_direction_b,@function
_ZN9rocsparseL18bsrsv_lower_sharedILj128ELj64ELi32ELb1E21rocsparse_complex_numIfEEEviNS_24const_host_device_scalarIT3_EEPKiS7_PKS4_iS9_PS4_PiSB_SB_21rocsparse_index_base_20rocsparse_diag_type_20rocsparse_direction_b: ; @_ZN9rocsparseL18bsrsv_lower_sharedILj128ELj64ELi32ELb1E21rocsparse_complex_numIfEEEviNS_24const_host_device_scalarIT3_EEPKiS7_PKS4_iS9_PS4_PiSB_SB_21rocsparse_index_base_20rocsparse_diag_type_20rocsparse_direction_b
; %bb.0:
	s_load_dwordx4 s[8:11], s[4:5], 0x58
	s_load_dwordx2 s[2:3], s[4:5], 0x8
	s_waitcnt lgkmcnt(0)
	s_bitcmp1_b32 s11, 0
	s_cselect_b64 s[12:13], -1, 0
	s_xor_b64 s[0:1], s[12:13], -1
	s_and_b64 vcc, exec, s[12:13]
	s_mov_b32 s11, s2
	s_cbranch_vccnz .LBB57_2
; %bb.1:
	s_load_dword s11, s[2:3], 0x0
.LBB57_2:
	s_andn2_b64 vcc, exec, s[0:1]
	s_cbranch_vccnz .LBB57_4
; %bb.3:
	s_load_dword s3, s[2:3], 0x4
.LBB57_4:
	s_nop 0
	s_load_dword s2, s[4:5], 0x0
	s_lshl_b32 s0, s6, 1
	v_lshrrev_b32_e32 v11, 6, v0
	s_and_b32 s0, s0, 0x3fffffe
	v_or_b32_e32 v1, s0, v11
	s_waitcnt lgkmcnt(0)
	v_cmp_gt_i32_e32 vcc, s2, v1
	s_and_saveexec_b64 s[0:1], vcc
	s_cbranch_execz .LBB57_35
; %bb.5:
	s_load_dwordx2 s[0:1], s[4:5], 0x48
	s_load_dwordx4 s[12:15], s[4:5], 0x38
	v_lshlrev_b32_e32 v1, 2, v1
	v_mov_b32_e32 v9, 0
	v_mov_b32_e32 v10, 0
	s_waitcnt lgkmcnt(0)
	global_load_dword v1, v1, s[0:1]
	s_load_dwordx2 s[0:1], s[4:5], 0x10
	s_load_dword s33, s[4:5], 0x28
	s_waitcnt lgkmcnt(0)
	v_mov_b32_e32 v5, s1
	s_waitcnt vmcnt(0)
	v_ashrrev_i32_e32 v2, 31, v1
	v_lshlrev_b64 v[2:3], 2, v[1:2]
	v_add_co_u32_e32 v4, vcc, s0, v2
	v_addc_co_u32_e32 v5, vcc, v5, v3, vcc
	global_load_dwordx2 v[5:6], v[4:5], off
	v_and_b32_e32 v4, 63, v0
	v_cmp_gt_i32_e64 s[0:1], s33, v4
	s_and_saveexec_b64 s[6:7], s[0:1]
	s_cbranch_execz .LBB57_7
; %bb.6:
	s_waitcnt vmcnt(0)
	v_mad_u64_u32 v[7:8], s[16:17], v1, s33, v[4:5]
	s_load_dwordx2 s[16:17], s[4:5], 0x30
	v_ashrrev_i32_e32 v8, 31, v7
	v_lshlrev_b64 v[7:8], 3, v[7:8]
	s_waitcnt lgkmcnt(0)
	v_mov_b32_e32 v9, s17
	v_add_co_u32_e32 v7, vcc, s16, v7
	v_addc_co_u32_e32 v8, vcc, v9, v8, vcc
	global_load_dwordx2 v[9:10], v[7:8], off
.LBB57_7:
	s_or_b64 exec, exec, s[6:7]
	s_load_dwordx2 s[20:21], s[4:5], 0x50
	s_waitcnt vmcnt(0)
	v_mul_f32_e64 v7, v10, -s3
	v_mul_f32_e32 v8, s11, v10
	v_fmac_f32_e32 v7, s11, v9
	v_fmac_f32_e32 v8, s3, v9
	v_lshlrev_b32_e32 v12, 13, v11
	v_cmp_lt_i32_e32 vcc, v5, v6
	v_mov_b32_e32 v9, s2
	s_and_saveexec_b64 s[22:23], vcc
	s_cbranch_execz .LBB57_32
; %bb.8:
	v_mov_b32_e32 v9, 0x4000
	v_subrev_u32_e32 v5, s8, v5
	v_and_b32_e32 v0, 31, v0
	v_lshl_or_b32 v13, v11, 8, v9
	v_mad_u64_u32 v[9:10], s[6:7], s33, v5, v[0:1]
	s_load_dwordx4 s[16:19], s[4:5], 0x18
	v_subrev_u32_e32 v14, s8, v6
	v_mul_lo_u32 v18, s33, v9
	v_lshrrev_b32_e32 v15, 5, v4
	v_lshlrev_b32_e32 v6, 3, v4
	s_cmp_lg_u32 s10, 0
	v_add_u32_e32 v16, v13, v6
	v_add_u32_e32 v17, v12, v6
	v_lshlrev_b32_e32 v6, 8, v15
	v_lshlrev_b32_e32 v9, 3, v0
	v_cmp_gt_i32_e64 s[2:3], s33, v0
	s_cselect_b64 s[10:11], -1, 0
	v_cmp_gt_u32_e64 s[4:5], 32, v4
	s_mul_i32 s34, s33, s33
	v_add3_u32 v19, v12, v6, v9
	s_mov_b64 s[24:25], 0
	s_waitcnt lgkmcnt(0)
	v_mov_b32_e32 v20, s17
	v_add_u32_e32 v21, 0x800, v17
	v_add_u32_e32 v22, 0x1000, v17
	;; [unrolled: 1-line block ×3, first 2 shown]
	s_branch .LBB57_11
.LBB57_9:                               ;   in Loop: Header=BB57_11 Depth=1
	s_or_b64 exec, exec, s[6:7]
.LBB57_10:                              ;   in Loop: Header=BB57_11 Depth=1
	s_or_b64 exec, exec, s[26:27]
	v_add_u32_e32 v5, 1, v5
	v_cmp_ge_i32_e64 s[6:7], v5, v14
	s_xor_b64 s[26:27], vcc, -1
	s_or_b64 s[6:7], s[26:27], s[6:7]
	s_and_b64 s[6:7], exec, s[6:7]
	s_or_b64 s[24:25], s[6:7], s[24:25]
	v_add_u32_e32 v18, s34, v18
	s_andn2_b64 exec, exec, s[24:25]
	s_cbranch_execz .LBB57_31
.LBB57_11:                              ; =>This Loop Header: Depth=1
                                        ;     Child Loop BB57_14 Depth 2
                                        ;     Child Loop BB57_23 Depth 2
                                        ;       Child Loop BB57_24 Depth 3
	v_ashrrev_i32_e32 v6, 31, v5
	v_lshlrev_b64 v[9:10], 2, v[5:6]
	v_mul_lo_u32 v11, v5, s33
	v_add_co_u32_e32 v9, vcc, s16, v9
	v_addc_co_u32_e32 v10, vcc, v20, v10, vcc
	global_load_dword v6, v[9:10], off
	s_mov_b64 s[6:7], 0
	v_mov_b32_e32 v24, v19
	v_mov_b32_e32 v25, v15
	s_branch .LBB57_14
.LBB57_12:                              ;   in Loop: Header=BB57_14 Depth=2
	v_ashrrev_i32_e32 v10, 31, v9
	v_lshlrev_b64 v[9:10], 3, v[9:10]
	v_mov_b32_e32 v26, s19
	v_add_co_u32_e32 v9, vcc, s18, v9
	v_addc_co_u32_e32 v10, vcc, v26, v10, vcc
	global_load_dwordx2 v[9:10], v[9:10], off
.LBB57_13:                              ;   in Loop: Header=BB57_14 Depth=2
	s_or_b64 exec, exec, s[26:27]
	s_waitcnt vmcnt(0)
	ds_write_b64 v24, v[9:10]
	v_add_u32_e32 v9, 2, v25
	v_cmp_lt_u32_e32 vcc, 29, v25
	v_add_u32_e32 v24, 0x200, v24
	s_or_b64 s[6:7], vcc, s[6:7]
	v_mov_b32_e32 v25, v9
	s_andn2_b64 exec, exec, s[6:7]
	s_cbranch_execz .LBB57_19
.LBB57_14:                              ;   Parent Loop BB57_11 Depth=1
                                        ; =>  This Inner Loop Header: Depth=2
	v_cmp_gt_i32_e32 vcc, s33, v25
	s_and_b64 s[28:29], s[2:3], vcc
	v_mov_b32_e32 v9, 0
	v_mov_b32_e32 v10, 0
	s_and_saveexec_b64 s[26:27], s[28:29]
	s_cbranch_execz .LBB57_13
; %bb.15:                               ;   in Loop: Header=BB57_14 Depth=2
	s_and_b64 vcc, exec, s[10:11]
	s_cbranch_vccz .LBB57_17
; %bb.16:                               ;   in Loop: Header=BB57_14 Depth=2
	v_add_u32_e32 v9, v25, v11
	v_mad_u64_u32 v[9:10], s[28:29], v9, s33, v[0:1]
	s_cbranch_execnz .LBB57_12
	s_branch .LBB57_18
.LBB57_17:                              ;   in Loop: Header=BB57_14 Depth=2
                                        ; implicit-def: $vgpr9
.LBB57_18:                              ;   in Loop: Header=BB57_14 Depth=2
	v_add_u32_e32 v9, v18, v25
	s_branch .LBB57_12
.LBB57_19:                              ;   in Loop: Header=BB57_11 Depth=1
	s_or_b64 exec, exec, s[6:7]
	v_subrev_u32_e32 v9, s8, v6
	v_cmp_lt_i32_e32 vcc, v9, v1
	s_and_saveexec_b64 s[26:27], vcc
	s_cbranch_execz .LBB57_10
; %bb.20:                               ;   in Loop: Header=BB57_11 Depth=1
	v_ashrrev_i32_e32 v10, 31, v9
	v_lshlrev_b64 v[10:11], 2, v[9:10]
	v_mov_b32_e32 v6, s15
	v_add_co_u32_e64 v10, s[6:7], s14, v10
	v_addc_co_u32_e64 v11, s[6:7], v6, v11, s[6:7]
	global_load_dword v6, v[10:11], off glc
	s_waitcnt vmcnt(0)
	v_cmp_eq_u32_e64 s[6:7], 0, v6
	s_and_saveexec_b64 s[28:29], s[6:7]
	s_cbranch_execz .LBB57_25
; %bb.21:                               ;   in Loop: Header=BB57_11 Depth=1
	s_mov_b32 s17, 0
	s_mov_b64 s[30:31], 0
	s_branch .LBB57_23
.LBB57_22:                              ;   in Loop: Header=BB57_23 Depth=2
	global_load_dword v6, v[10:11], off glc
	s_cmpk_lt_u32 s17, 0xf43
	s_cselect_b64 s[6:7], -1, 0
	s_cmp_lg_u64 s[6:7], 0
	s_addc_u32 s17, s17, 0
	s_waitcnt vmcnt(0)
	v_cmp_ne_u32_e64 s[6:7], 0, v6
	s_or_b64 s[30:31], s[6:7], s[30:31]
	s_andn2_b64 exec, exec, s[30:31]
	s_cbranch_execz .LBB57_25
.LBB57_23:                              ;   Parent Loop BB57_11 Depth=1
                                        ; =>  This Loop Header: Depth=2
                                        ;       Child Loop BB57_24 Depth 3
	s_cmp_eq_u32 s17, 0
	s_mov_b32 s6, s17
	s_cbranch_scc1 .LBB57_22
.LBB57_24:                              ;   Parent Loop BB57_11 Depth=1
                                        ;     Parent Loop BB57_23 Depth=2
                                        ; =>    This Inner Loop Header: Depth=3
	s_add_i32 s6, s6, -1
	s_cmp_eq_u32 s6, 0
	s_sleep 1
	s_cbranch_scc0 .LBB57_24
	s_branch .LBB57_22
.LBB57_25:                              ;   in Loop: Header=BB57_11 Depth=1
	s_or_b64 exec, exec, s[28:29]
	s_waitcnt lgkmcnt(0)
	buffer_wbinvl1_vol
	s_and_saveexec_b64 s[28:29], s[4:5]
	s_cbranch_execz .LBB57_29
; %bb.26:                               ;   in Loop: Header=BB57_11 Depth=1
	v_mov_b32_e32 v11, 0
	v_mov_b32_e32 v10, 0
	s_and_saveexec_b64 s[30:31], s[0:1]
	s_cbranch_execz .LBB57_28
; %bb.27:                               ;   in Loop: Header=BB57_11 Depth=1
	v_mad_u64_u32 v[10:11], s[6:7], v9, s33, v[4:5]
	v_mov_b32_e32 v6, s13
	v_ashrrev_i32_e32 v11, 31, v10
	v_lshlrev_b64 v[10:11], 3, v[10:11]
	v_add_co_u32_e64 v10, s[6:7], s12, v10
	v_addc_co_u32_e64 v11, s[6:7], v6, v11, s[6:7]
	global_load_dwordx2 v[10:11], v[10:11], off
.LBB57_28:                              ;   in Loop: Header=BB57_11 Depth=1
	s_or_b64 exec, exec, s[30:31]
	s_waitcnt vmcnt(0)
	ds_write_b64 v16, v[10:11]
.LBB57_29:                              ;   in Loop: Header=BB57_11 Depth=1
	s_or_b64 exec, exec, s[28:29]
	s_waitcnt lgkmcnt(0)
	s_and_saveexec_b64 s[6:7], s[0:1]
	s_cbranch_execz .LBB57_9
; %bb.30:                               ;   in Loop: Header=BB57_11 Depth=1
	ds_read2_b64 v[24:27], v17 offset1:32
	ds_read_b128 v[28:31], v13
	ds_read_b128 v[32:35], v13 offset:16
	ds_read_b128 v[36:39], v13 offset:32
	;; [unrolled: 1-line block ×3, first 2 shown]
	ds_read2_b64 v[44:47], v17 offset0:64 offset1:96
	s_waitcnt lgkmcnt(4)
	v_fma_f32 v6, -v24, v28, v7
	v_fma_f32 v7, -v25, v28, v8
	v_fmac_f32_e32 v6, v25, v29
	v_fma_f32 v7, -v24, v29, v7
	v_fma_f32 v6, -v26, v30, v6
	v_fma_f32 v7, -v27, v30, v7
	v_fmac_f32_e32 v6, v27, v31
	v_fma_f32 v7, -v26, v31, v7
	ds_read2_b64 v[24:27], v17 offset0:128 offset1:160
	s_waitcnt lgkmcnt(1)
	v_fma_f32 v6, -v44, v32, v6
	v_fma_f32 v7, -v45, v32, v7
	v_fmac_f32_e32 v6, v45, v33
	v_fma_f32 v7, -v44, v33, v7
	v_fma_f32 v6, -v46, v34, v6
	v_fma_f32 v7, -v47, v34, v7
	v_fmac_f32_e32 v6, v47, v35
	v_fma_f32 v7, -v46, v35, v7
	;; [unrolled: 10-line block ×3, first 2 shown]
	ds_read2_b64 v[24:27], v21 offset1:32
	ds_read_b128 v[32:35], v13 offset:64
	s_waitcnt lgkmcnt(2)
	v_fma_f32 v6, -v28, v40, v6
	v_fma_f32 v7, -v29, v40, v7
	v_fmac_f32_e32 v6, v29, v41
	v_fma_f32 v7, -v28, v41, v7
	v_fma_f32 v6, -v30, v42, v6
	v_fma_f32 v7, -v31, v42, v7
	v_fmac_f32_e32 v6, v31, v43
	v_fma_f32 v7, -v30, v43, v7
	ds_read_b128 v[28:31], v13 offset:80
	ds_read2_b64 v[36:39], v21 offset0:64 offset1:96
	s_waitcnt lgkmcnt(2)
	v_fma_f32 v6, -v24, v32, v6
	v_fma_f32 v7, -v25, v32, v7
	v_fmac_f32_e32 v6, v25, v33
	v_fma_f32 v7, -v24, v33, v7
	v_fma_f32 v6, -v26, v34, v6
	v_fma_f32 v7, -v27, v34, v7
	v_fmac_f32_e32 v6, v27, v35
	v_fma_f32 v7, -v26, v35, v7
	ds_read2_b64 v[24:27], v21 offset0:128 offset1:160
	ds_read_b128 v[32:35], v13 offset:96
	s_waitcnt lgkmcnt(2)
	v_fma_f32 v6, -v36, v28, v6
	v_fma_f32 v7, -v37, v28, v7
	v_fmac_f32_e32 v6, v37, v29
	v_fma_f32 v7, -v36, v29, v7
	v_fma_f32 v6, -v38, v30, v6
	v_fma_f32 v7, -v39, v30, v7
	v_fmac_f32_e32 v6, v39, v31
	v_fma_f32 v7, -v38, v31, v7
	ds_read_b128 v[28:31], v13 offset:112
	ds_read2_b64 v[36:39], v21 offset0:192 offset1:224
	s_waitcnt lgkmcnt(2)
	v_fma_f32 v6, -v24, v32, v6
	v_fma_f32 v7, -v25, v32, v7
	v_fmac_f32_e32 v6, v25, v33
	v_fma_f32 v7, -v24, v33, v7
	v_fma_f32 v6, -v26, v34, v6
	v_fma_f32 v7, -v27, v34, v7
	v_fmac_f32_e32 v6, v27, v35
	v_fma_f32 v7, -v26, v35, v7
	ds_read2_b64 v[24:27], v22 offset1:32
	ds_read_b128 v[32:35], v13 offset:128
	s_waitcnt lgkmcnt(2)
	v_fma_f32 v6, -v36, v28, v6
	v_fma_f32 v7, -v37, v28, v7
	v_fmac_f32_e32 v6, v37, v29
	v_fma_f32 v7, -v36, v29, v7
	v_fma_f32 v6, -v38, v30, v6
	v_fma_f32 v7, -v39, v30, v7
	v_fmac_f32_e32 v6, v39, v31
	v_fma_f32 v7, -v38, v31, v7
	ds_read_b128 v[28:31], v13 offset:144
	ds_read2_b64 v[36:39], v22 offset0:64 offset1:96
	s_waitcnt lgkmcnt(2)
	v_fma_f32 v6, -v24, v32, v6
	v_fma_f32 v7, -v25, v32, v7
	v_fmac_f32_e32 v6, v25, v33
	v_fma_f32 v7, -v24, v33, v7
	v_fma_f32 v6, -v26, v34, v6
	v_fma_f32 v7, -v27, v34, v7
	v_fmac_f32_e32 v6, v27, v35
	v_fma_f32 v7, -v26, v35, v7
	ds_read2_b64 v[24:27], v22 offset0:128 offset1:160
	ds_read_b128 v[32:35], v13 offset:160
	s_waitcnt lgkmcnt(2)
	v_fma_f32 v6, -v36, v28, v6
	v_fma_f32 v7, -v37, v28, v7
	v_fmac_f32_e32 v6, v37, v29
	v_fma_f32 v7, -v36, v29, v7
	v_fma_f32 v6, -v38, v30, v6
	v_fma_f32 v7, -v39, v30, v7
	v_fmac_f32_e32 v6, v39, v31
	v_fma_f32 v7, -v38, v31, v7
	ds_read_b128 v[28:31], v13 offset:176
	ds_read2_b64 v[36:39], v22 offset0:192 offset1:224
	s_waitcnt lgkmcnt(2)
	v_fma_f32 v6, -v24, v32, v6
	v_fma_f32 v7, -v25, v32, v7
	v_fmac_f32_e32 v6, v25, v33
	v_fma_f32 v7, -v24, v33, v7
	v_fma_f32 v6, -v26, v34, v6
	v_fma_f32 v7, -v27, v34, v7
	v_fmac_f32_e32 v6, v27, v35
	v_fma_f32 v7, -v26, v35, v7
	;; [unrolled: 44-line block ×3, first 2 shown]
	s_waitcnt lgkmcnt(0)
	v_fma_f32 v6, -v36, v28, v6
	v_fma_f32 v7, -v37, v28, v7
	v_fmac_f32_e32 v6, v37, v29
	v_fma_f32 v8, -v36, v29, v7
	v_fma_f32 v7, -v38, v30, v6
	;; [unrolled: 1-line block ×3, first 2 shown]
	v_fmac_f32_e32 v7, v39, v31
	v_fma_f32 v8, -v38, v31, v6
	s_branch .LBB57_9
.LBB57_31:
	s_or_b64 exec, exec, s[24:25]
.LBB57_32:
	s_or_b64 exec, exec, s[22:23]
	s_cmp_gt_i32 s33, 0
	v_cmp_eq_u32_e32 vcc, v9, v1
	s_cselect_b64 s[2:3], -1, 0
	s_mov_b32 s18, 0
	s_and_b64 s[4:5], s[2:3], vcc
	s_mov_b64 s[2:3], 0
	s_and_saveexec_b64 s[6:7], s[4:5]
	s_cbranch_execnz .LBB57_36
; %bb.33:
	s_or_b64 exec, exec, s[6:7]
	s_and_saveexec_b64 s[4:5], s[0:1]
	s_cbranch_execnz .LBB57_50
.LBB57_34:
	s_or_b64 exec, exec, s[4:5]
	v_cmp_eq_u32_e32 vcc, 0, v4
	s_and_b64 exec, exec, vcc
	s_cbranch_execnz .LBB57_51
.LBB57_35:
	s_endpgm
.LBB57_36:
	s_cmp_eq_u32 s9, 0
	v_mbcnt_lo_u32_b32 v0, -1, 0
	s_cselect_b64 s[2:3], -1, 0
	v_mbcnt_hi_u32_b32 v0, -1, v0
	v_cndmask_b32_e64 v5, 0, 1, s[2:3]
	v_and_b32_e32 v0, 64, v0
	v_lshl_add_u32 v9, v4, 3, v12
	s_mov_b64 s[16:17], 0
	v_cmp_ne_u32_e64 s[2:3], 1, v5
                                        ; implicit-def: $sgpr10_sgpr11
	s_and_b64 vcc, exec, s[2:3]
	s_cbranch_vccz .LBB57_38
.LBB57_37:
	v_mov_b32_e32 v5, 1.0
	v_mov_b32_e32 v6, 0
	s_branch .LBB57_39
.LBB57_38:
	ds_read_b64 v[5:6], v12
.LBB57_39:
	v_and_or_b32 v10, s18, 63, v0
	v_lshlrev_b32_e32 v10, 2, v10
	ds_bpermute_b32 v11, v10, v7
	ds_bpermute_b32 v10, v10, v8
	s_waitcnt lgkmcnt(0)
	v_cmp_neq_f32_e32 vcc, 0, v5
	v_cmp_neq_f32_e64 s[4:5], 0, v6
	s_or_b64 s[22:23], vcc, s[4:5]
	s_or_b64 s[10:11], s[10:11], exec
	s_and_saveexec_b64 s[4:5], s[22:23]
	s_cbranch_execz .LBB57_41
; %bb.40:
	v_mul_f32_e32 v13, v6, v6
	v_fmac_f32_e32 v13, v5, v5
	v_div_scale_f32 v14, s[22:23], v13, v13, 1.0
	v_div_scale_f32 v15, vcc, 1.0, v13, 1.0
	s_andn2_b64 s[10:11], s[10:11], exec
	s_and_b64 s[16:17], s[16:17], exec
	s_or_b64 s[10:11], s[10:11], s[16:17]
	v_rcp_f32_e32 v16, v14
	v_fma_f32 v17, -v14, v16, 1.0
	v_fmac_f32_e32 v16, v17, v16
	v_mul_f32_e32 v17, v15, v16
	v_fma_f32 v18, -v14, v17, v15
	v_fmac_f32_e32 v17, v18, v16
	v_fma_f32 v14, -v14, v17, v15
	v_div_fmas_f32 v14, v14, v16, v17
	v_mul_f32_e32 v15, v6, v10
	v_mul_f32_e64 v6, v6, -v11
	v_fmac_f32_e32 v15, v11, v5
	v_fmac_f32_e32 v6, v10, v5
	v_div_fixup_f32 v5, v14, v13, 1.0
	v_mul_f32_e32 v11, v5, v15
	v_mul_f32_e32 v10, v5, v6
.LBB57_41:
	s_or_b64 exec, exec, s[4:5]
	s_and_saveexec_b64 s[4:5], s[0:1]
	s_cbranch_execz .LBB57_47
; %bb.42:
	v_cmp_ge_u32_e32 vcc, s18, v4
	s_and_saveexec_b64 s[16:17], vcc
	s_xor_b64 s[16:17], exec, s[16:17]
; %bb.43:
	v_cmp_eq_u32_e32 vcc, s18, v4
	v_cndmask_b32_e32 v7, v7, v11, vcc
	v_cndmask_b32_e32 v8, v8, v10, vcc
                                        ; implicit-def: $vgpr11
                                        ; implicit-def: $vgpr10
; %bb.44:
	s_andn2_saveexec_b64 s[16:17], s[16:17]
	s_cbranch_execz .LBB57_46
; %bb.45:
	ds_read_b64 v[5:6], v9
	s_waitcnt lgkmcnt(0)
	v_fma_f32 v7, -v11, v5, v7
	v_fma_f32 v5, -v10, v5, v8
	v_fmac_f32_e32 v7, v10, v6
	v_fma_f32 v8, -v11, v6, v5
.LBB57_46:
	s_or_b64 exec, exec, s[16:17]
.LBB57_47:
	s_or_b64 exec, exec, s[4:5]
	s_add_i32 s18, s18, 1
	v_add_u32_e32 v9, 0x100, v9
	s_cmp_lg_u32 s33, s18
	v_add_u32_e32 v12, 0x108, v12
	s_cbranch_scc0 .LBB57_49
; %bb.48:
	s_mov_b64 s[16:17], s[10:11]
	s_and_b64 vcc, exec, s[2:3]
	s_cbranch_vccnz .LBB57_37
	s_branch .LBB57_38
.LBB57_49:
	s_and_b64 s[2:3], s[10:11], exec
	s_or_b64 exec, exec, s[6:7]
	s_and_saveexec_b64 s[4:5], s[0:1]
	s_cbranch_execz .LBB57_34
.LBB57_50:
	v_mad_u64_u32 v[5:6], s[0:1], v1, s33, v[4:5]
	v_mov_b32_e32 v0, s13
	v_ashrrev_i32_e32 v6, 31, v5
	v_lshlrev_b64 v[5:6], 3, v[5:6]
	v_add_co_u32_e32 v5, vcc, s12, v5
	v_addc_co_u32_e32 v6, vcc, v0, v6, vcc
	global_store_dwordx2 v[5:6], v[7:8], off
	s_or_b64 exec, exec, s[4:5]
	v_cmp_eq_u32_e32 vcc, 0, v4
	s_and_b64 exec, exec, vcc
	s_cbranch_execz .LBB57_35
.LBB57_51:
	v_mov_b32_e32 v0, s15
	v_add_co_u32_e32 v2, vcc, s14, v2
	v_addc_co_u32_e32 v3, vcc, v0, v3, vcc
	v_mov_b32_e32 v0, 1
	s_waitcnt vmcnt(0) lgkmcnt(0)
	global_store_dword v[2:3], v0, off
	s_and_b64 exec, exec, s[2:3]
	s_cbranch_execz .LBB57_35
; %bb.52:
	s_mov_b64 s[0:1], exec
	v_add_u32_e32 v0, s8, v1
	s_brev_b32 s2, -2
.LBB57_53:                              ; =>This Inner Loop Header: Depth=1
	s_ff1_i32_b64 s3, s[0:1]
	v_readlane_b32 s6, v0, s3
	s_lshl_b64 s[4:5], 1, s3
	s_min_i32 s2, s2, s6
	s_andn2_b64 s[0:1], s[0:1], s[4:5]
	s_cmp_lg_u64 s[0:1], 0
	s_cbranch_scc1 .LBB57_53
; %bb.54:
	v_mbcnt_lo_u32_b32 v0, exec_lo, 0
	v_mbcnt_hi_u32_b32 v0, exec_hi, v0
	v_cmp_eq_u32_e32 vcc, 0, v0
	s_and_saveexec_b64 s[0:1], vcc
	s_xor_b64 s[0:1], exec, s[0:1]
	s_cbranch_execz .LBB57_35
; %bb.55:
	v_mov_b32_e32 v0, 0
	v_mov_b32_e32 v1, s2
	global_atomic_smin v0, v1, s[20:21]
	s_endpgm
	.section	.rodata,"a",@progbits
	.p2align	6, 0x0
	.amdhsa_kernel _ZN9rocsparseL18bsrsv_lower_sharedILj128ELj64ELi32ELb1E21rocsparse_complex_numIfEEEviNS_24const_host_device_scalarIT3_EEPKiS7_PKS4_iS9_PS4_PiSB_SB_21rocsparse_index_base_20rocsparse_diag_type_20rocsparse_direction_b
		.amdhsa_group_segment_fixed_size 16896
		.amdhsa_private_segment_fixed_size 0
		.amdhsa_kernarg_size 104
		.amdhsa_user_sgpr_count 6
		.amdhsa_user_sgpr_private_segment_buffer 1
		.amdhsa_user_sgpr_dispatch_ptr 0
		.amdhsa_user_sgpr_queue_ptr 0
		.amdhsa_user_sgpr_kernarg_segment_ptr 1
		.amdhsa_user_sgpr_dispatch_id 0
		.amdhsa_user_sgpr_flat_scratch_init 0
		.amdhsa_user_sgpr_private_segment_size 0
		.amdhsa_uses_dynamic_stack 0
		.amdhsa_system_sgpr_private_segment_wavefront_offset 0
		.amdhsa_system_sgpr_workgroup_id_x 1
		.amdhsa_system_sgpr_workgroup_id_y 0
		.amdhsa_system_sgpr_workgroup_id_z 0
		.amdhsa_system_sgpr_workgroup_info 0
		.amdhsa_system_vgpr_workitem_id 0
		.amdhsa_next_free_vgpr 85
		.amdhsa_next_free_sgpr 98
		.amdhsa_reserve_vcc 1
		.amdhsa_reserve_flat_scratch 0
		.amdhsa_float_round_mode_32 0
		.amdhsa_float_round_mode_16_64 0
		.amdhsa_float_denorm_mode_32 3
		.amdhsa_float_denorm_mode_16_64 3
		.amdhsa_dx10_clamp 1
		.amdhsa_ieee_mode 1
		.amdhsa_fp16_overflow 0
		.amdhsa_exception_fp_ieee_invalid_op 0
		.amdhsa_exception_fp_denorm_src 0
		.amdhsa_exception_fp_ieee_div_zero 0
		.amdhsa_exception_fp_ieee_overflow 0
		.amdhsa_exception_fp_ieee_underflow 0
		.amdhsa_exception_fp_ieee_inexact 0
		.amdhsa_exception_int_div_zero 0
	.end_amdhsa_kernel
	.section	.text._ZN9rocsparseL18bsrsv_lower_sharedILj128ELj64ELi32ELb1E21rocsparse_complex_numIfEEEviNS_24const_host_device_scalarIT3_EEPKiS7_PKS4_iS9_PS4_PiSB_SB_21rocsparse_index_base_20rocsparse_diag_type_20rocsparse_direction_b,"axG",@progbits,_ZN9rocsparseL18bsrsv_lower_sharedILj128ELj64ELi32ELb1E21rocsparse_complex_numIfEEEviNS_24const_host_device_scalarIT3_EEPKiS7_PKS4_iS9_PS4_PiSB_SB_21rocsparse_index_base_20rocsparse_diag_type_20rocsparse_direction_b,comdat
.Lfunc_end57:
	.size	_ZN9rocsparseL18bsrsv_lower_sharedILj128ELj64ELi32ELb1E21rocsparse_complex_numIfEEEviNS_24const_host_device_scalarIT3_EEPKiS7_PKS4_iS9_PS4_PiSB_SB_21rocsparse_index_base_20rocsparse_diag_type_20rocsparse_direction_b, .Lfunc_end57-_ZN9rocsparseL18bsrsv_lower_sharedILj128ELj64ELi32ELb1E21rocsparse_complex_numIfEEEviNS_24const_host_device_scalarIT3_EEPKiS7_PKS4_iS9_PS4_PiSB_SB_21rocsparse_index_base_20rocsparse_diag_type_20rocsparse_direction_b
                                        ; -- End function
	.set _ZN9rocsparseL18bsrsv_lower_sharedILj128ELj64ELi32ELb1E21rocsparse_complex_numIfEEEviNS_24const_host_device_scalarIT3_EEPKiS7_PKS4_iS9_PS4_PiSB_SB_21rocsparse_index_base_20rocsparse_diag_type_20rocsparse_direction_b.num_vgpr, 48
	.set _ZN9rocsparseL18bsrsv_lower_sharedILj128ELj64ELi32ELb1E21rocsparse_complex_numIfEEEviNS_24const_host_device_scalarIT3_EEPKiS7_PKS4_iS9_PS4_PiSB_SB_21rocsparse_index_base_20rocsparse_diag_type_20rocsparse_direction_b.num_agpr, 0
	.set _ZN9rocsparseL18bsrsv_lower_sharedILj128ELj64ELi32ELb1E21rocsparse_complex_numIfEEEviNS_24const_host_device_scalarIT3_EEPKiS7_PKS4_iS9_PS4_PiSB_SB_21rocsparse_index_base_20rocsparse_diag_type_20rocsparse_direction_b.numbered_sgpr, 35
	.set _ZN9rocsparseL18bsrsv_lower_sharedILj128ELj64ELi32ELb1E21rocsparse_complex_numIfEEEviNS_24const_host_device_scalarIT3_EEPKiS7_PKS4_iS9_PS4_PiSB_SB_21rocsparse_index_base_20rocsparse_diag_type_20rocsparse_direction_b.num_named_barrier, 0
	.set _ZN9rocsparseL18bsrsv_lower_sharedILj128ELj64ELi32ELb1E21rocsparse_complex_numIfEEEviNS_24const_host_device_scalarIT3_EEPKiS7_PKS4_iS9_PS4_PiSB_SB_21rocsparse_index_base_20rocsparse_diag_type_20rocsparse_direction_b.private_seg_size, 0
	.set _ZN9rocsparseL18bsrsv_lower_sharedILj128ELj64ELi32ELb1E21rocsparse_complex_numIfEEEviNS_24const_host_device_scalarIT3_EEPKiS7_PKS4_iS9_PS4_PiSB_SB_21rocsparse_index_base_20rocsparse_diag_type_20rocsparse_direction_b.uses_vcc, 1
	.set _ZN9rocsparseL18bsrsv_lower_sharedILj128ELj64ELi32ELb1E21rocsparse_complex_numIfEEEviNS_24const_host_device_scalarIT3_EEPKiS7_PKS4_iS9_PS4_PiSB_SB_21rocsparse_index_base_20rocsparse_diag_type_20rocsparse_direction_b.uses_flat_scratch, 0
	.set _ZN9rocsparseL18bsrsv_lower_sharedILj128ELj64ELi32ELb1E21rocsparse_complex_numIfEEEviNS_24const_host_device_scalarIT3_EEPKiS7_PKS4_iS9_PS4_PiSB_SB_21rocsparse_index_base_20rocsparse_diag_type_20rocsparse_direction_b.has_dyn_sized_stack, 0
	.set _ZN9rocsparseL18bsrsv_lower_sharedILj128ELj64ELi32ELb1E21rocsparse_complex_numIfEEEviNS_24const_host_device_scalarIT3_EEPKiS7_PKS4_iS9_PS4_PiSB_SB_21rocsparse_index_base_20rocsparse_diag_type_20rocsparse_direction_b.has_recursion, 0
	.set _ZN9rocsparseL18bsrsv_lower_sharedILj128ELj64ELi32ELb1E21rocsparse_complex_numIfEEEviNS_24const_host_device_scalarIT3_EEPKiS7_PKS4_iS9_PS4_PiSB_SB_21rocsparse_index_base_20rocsparse_diag_type_20rocsparse_direction_b.has_indirect_call, 0
	.section	.AMDGPU.csdata,"",@progbits
; Kernel info:
; codeLenInByte = 2924
; TotalNumSgprs: 39
; NumVgprs: 48
; ScratchSize: 0
; MemoryBound: 0
; FloatMode: 240
; IeeeMode: 1
; LDSByteSize: 16896 bytes/workgroup (compile time only)
; SGPRBlocks: 12
; VGPRBlocks: 21
; NumSGPRsForWavesPerEU: 102
; NumVGPRsForWavesPerEU: 85
; Occupancy: 2
; WaveLimiterHint : 1
; COMPUTE_PGM_RSRC2:SCRATCH_EN: 0
; COMPUTE_PGM_RSRC2:USER_SGPR: 6
; COMPUTE_PGM_RSRC2:TRAP_HANDLER: 0
; COMPUTE_PGM_RSRC2:TGID_X_EN: 1
; COMPUTE_PGM_RSRC2:TGID_Y_EN: 0
; COMPUTE_PGM_RSRC2:TGID_Z_EN: 0
; COMPUTE_PGM_RSRC2:TIDIG_COMP_CNT: 0
	.section	.text._ZN9rocsparseL18bsrsv_lower_sharedILj128ELj64ELi32ELb0E21rocsparse_complex_numIfEEEviNS_24const_host_device_scalarIT3_EEPKiS7_PKS4_iS9_PS4_PiSB_SB_21rocsparse_index_base_20rocsparse_diag_type_20rocsparse_direction_b,"axG",@progbits,_ZN9rocsparseL18bsrsv_lower_sharedILj128ELj64ELi32ELb0E21rocsparse_complex_numIfEEEviNS_24const_host_device_scalarIT3_EEPKiS7_PKS4_iS9_PS4_PiSB_SB_21rocsparse_index_base_20rocsparse_diag_type_20rocsparse_direction_b,comdat
	.globl	_ZN9rocsparseL18bsrsv_lower_sharedILj128ELj64ELi32ELb0E21rocsparse_complex_numIfEEEviNS_24const_host_device_scalarIT3_EEPKiS7_PKS4_iS9_PS4_PiSB_SB_21rocsparse_index_base_20rocsparse_diag_type_20rocsparse_direction_b ; -- Begin function _ZN9rocsparseL18bsrsv_lower_sharedILj128ELj64ELi32ELb0E21rocsparse_complex_numIfEEEviNS_24const_host_device_scalarIT3_EEPKiS7_PKS4_iS9_PS4_PiSB_SB_21rocsparse_index_base_20rocsparse_diag_type_20rocsparse_direction_b
	.p2align	8
	.type	_ZN9rocsparseL18bsrsv_lower_sharedILj128ELj64ELi32ELb0E21rocsparse_complex_numIfEEEviNS_24const_host_device_scalarIT3_EEPKiS7_PKS4_iS9_PS4_PiSB_SB_21rocsparse_index_base_20rocsparse_diag_type_20rocsparse_direction_b,@function
_ZN9rocsparseL18bsrsv_lower_sharedILj128ELj64ELi32ELb0E21rocsparse_complex_numIfEEEviNS_24const_host_device_scalarIT3_EEPKiS7_PKS4_iS9_PS4_PiSB_SB_21rocsparse_index_base_20rocsparse_diag_type_20rocsparse_direction_b: ; @_ZN9rocsparseL18bsrsv_lower_sharedILj128ELj64ELi32ELb0E21rocsparse_complex_numIfEEEviNS_24const_host_device_scalarIT3_EEPKiS7_PKS4_iS9_PS4_PiSB_SB_21rocsparse_index_base_20rocsparse_diag_type_20rocsparse_direction_b
; %bb.0:
	s_load_dwordx4 s[8:11], s[4:5], 0x58
	s_load_dwordx2 s[2:3], s[4:5], 0x8
	s_waitcnt lgkmcnt(0)
	s_bitcmp1_b32 s11, 0
	s_cselect_b64 s[12:13], -1, 0
	s_xor_b64 s[0:1], s[12:13], -1
	s_and_b64 vcc, exec, s[12:13]
	s_mov_b32 s11, s2
	s_cbranch_vccnz .LBB58_2
; %bb.1:
	s_load_dword s11, s[2:3], 0x0
.LBB58_2:
	s_andn2_b64 vcc, exec, s[0:1]
	s_cbranch_vccnz .LBB58_4
; %bb.3:
	s_load_dword s3, s[2:3], 0x4
.LBB58_4:
	s_nop 0
	s_load_dword s2, s[4:5], 0x0
	s_lshl_b32 s0, s6, 1
	v_lshrrev_b32_e32 v11, 6, v0
	s_and_b32 s0, s0, 0x3fffffe
	v_or_b32_e32 v1, s0, v11
	s_waitcnt lgkmcnt(0)
	v_cmp_gt_i32_e32 vcc, s2, v1
	s_and_saveexec_b64 s[0:1], vcc
	s_cbranch_execz .LBB58_33
; %bb.5:
	s_load_dwordx2 s[0:1], s[4:5], 0x48
	s_load_dwordx4 s[12:15], s[4:5], 0x38
	v_lshlrev_b32_e32 v1, 2, v1
	v_mov_b32_e32 v9, 0
	v_mov_b32_e32 v10, 0
	s_waitcnt lgkmcnt(0)
	global_load_dword v1, v1, s[0:1]
	s_load_dwordx2 s[0:1], s[4:5], 0x10
	s_load_dword s33, s[4:5], 0x28
	s_waitcnt lgkmcnt(0)
	v_mov_b32_e32 v5, s1
	s_waitcnt vmcnt(0)
	v_ashrrev_i32_e32 v2, 31, v1
	v_lshlrev_b64 v[2:3], 2, v[1:2]
	v_add_co_u32_e32 v4, vcc, s0, v2
	v_addc_co_u32_e32 v5, vcc, v5, v3, vcc
	global_load_dwordx2 v[5:6], v[4:5], off
	v_and_b32_e32 v4, 63, v0
	v_cmp_gt_i32_e64 s[0:1], s33, v4
	s_and_saveexec_b64 s[6:7], s[0:1]
	s_cbranch_execz .LBB58_7
; %bb.6:
	s_waitcnt vmcnt(0)
	v_mad_u64_u32 v[7:8], s[16:17], v1, s33, v[4:5]
	s_load_dwordx2 s[16:17], s[4:5], 0x30
	v_ashrrev_i32_e32 v8, 31, v7
	v_lshlrev_b64 v[7:8], 3, v[7:8]
	s_waitcnt lgkmcnt(0)
	v_mov_b32_e32 v9, s17
	v_add_co_u32_e32 v7, vcc, s16, v7
	v_addc_co_u32_e32 v8, vcc, v9, v8, vcc
	global_load_dwordx2 v[9:10], v[7:8], off
.LBB58_7:
	s_or_b64 exec, exec, s[6:7]
	s_load_dwordx2 s[20:21], s[4:5], 0x50
	s_waitcnt vmcnt(0)
	v_mul_f32_e64 v7, v10, -s3
	v_mul_f32_e32 v8, s11, v10
	v_fmac_f32_e32 v7, s11, v9
	v_fmac_f32_e32 v8, s3, v9
	v_lshlrev_b32_e32 v12, 13, v11
	v_cmp_lt_i32_e32 vcc, v5, v6
	v_mov_b32_e32 v9, s2
	s_and_saveexec_b64 s[22:23], vcc
	s_cbranch_execz .LBB58_30
; %bb.8:
	v_mov_b32_e32 v9, 0x4000
	v_subrev_u32_e32 v5, s8, v5
	v_and_b32_e32 v0, 31, v0
	v_lshl_or_b32 v13, v11, 8, v9
	v_mad_u64_u32 v[9:10], s[6:7], s33, v5, v[0:1]
	s_load_dwordx4 s[16:19], s[4:5], 0x18
	v_subrev_u32_e32 v14, s8, v6
	v_mul_lo_u32 v18, s33, v9
	v_lshrrev_b32_e32 v15, 5, v4
	v_lshlrev_b32_e32 v6, 3, v4
	s_cmp_lg_u32 s10, 0
	v_add_u32_e32 v16, v13, v6
	v_add_u32_e32 v17, v12, v6
	v_lshlrev_b32_e32 v6, 8, v15
	v_lshlrev_b32_e32 v9, 3, v0
	v_cmp_gt_i32_e64 s[2:3], s33, v0
	s_cselect_b64 s[10:11], -1, 0
	v_cmp_gt_u32_e64 s[4:5], 32, v4
	s_mul_i32 s34, s33, s33
	v_add3_u32 v19, v12, v6, v9
	s_mov_b64 s[24:25], 0
	s_waitcnt lgkmcnt(0)
	v_mov_b32_e32 v20, s17
	v_add_u32_e32 v21, 0x800, v17
	v_add_u32_e32 v22, 0x1000, v17
	;; [unrolled: 1-line block ×3, first 2 shown]
	s_branch .LBB58_11
.LBB58_9:                               ;   in Loop: Header=BB58_11 Depth=1
	s_or_b64 exec, exec, s[6:7]
.LBB58_10:                              ;   in Loop: Header=BB58_11 Depth=1
	s_or_b64 exec, exec, s[26:27]
	v_add_u32_e32 v5, 1, v5
	v_cmp_ge_i32_e64 s[6:7], v5, v14
	s_xor_b64 s[26:27], vcc, -1
	s_or_b64 s[6:7], s[26:27], s[6:7]
	s_and_b64 s[6:7], exec, s[6:7]
	s_or_b64 s[24:25], s[6:7], s[24:25]
	v_add_u32_e32 v18, s34, v18
	s_andn2_b64 exec, exec, s[24:25]
	s_cbranch_execz .LBB58_29
.LBB58_11:                              ; =>This Loop Header: Depth=1
                                        ;     Child Loop BB58_14 Depth 2
                                        ;     Child Loop BB58_22 Depth 2
	v_ashrrev_i32_e32 v6, 31, v5
	v_lshlrev_b64 v[9:10], 2, v[5:6]
	v_mul_lo_u32 v11, v5, s33
	v_add_co_u32_e32 v9, vcc, s16, v9
	v_addc_co_u32_e32 v10, vcc, v20, v10, vcc
	global_load_dword v6, v[9:10], off
	s_mov_b64 s[6:7], 0
	v_mov_b32_e32 v24, v19
	v_mov_b32_e32 v25, v15
	s_branch .LBB58_14
.LBB58_12:                              ;   in Loop: Header=BB58_14 Depth=2
	v_ashrrev_i32_e32 v10, 31, v9
	v_lshlrev_b64 v[9:10], 3, v[9:10]
	v_mov_b32_e32 v26, s19
	v_add_co_u32_e32 v9, vcc, s18, v9
	v_addc_co_u32_e32 v10, vcc, v26, v10, vcc
	global_load_dwordx2 v[9:10], v[9:10], off
.LBB58_13:                              ;   in Loop: Header=BB58_14 Depth=2
	s_or_b64 exec, exec, s[26:27]
	s_waitcnt vmcnt(0)
	ds_write_b64 v24, v[9:10]
	v_add_u32_e32 v9, 2, v25
	v_cmp_lt_u32_e32 vcc, 29, v25
	v_add_u32_e32 v24, 0x200, v24
	s_or_b64 s[6:7], vcc, s[6:7]
	v_mov_b32_e32 v25, v9
	s_andn2_b64 exec, exec, s[6:7]
	s_cbranch_execz .LBB58_19
.LBB58_14:                              ;   Parent Loop BB58_11 Depth=1
                                        ; =>  This Inner Loop Header: Depth=2
	v_cmp_gt_i32_e32 vcc, s33, v25
	s_and_b64 s[28:29], s[2:3], vcc
	v_mov_b32_e32 v9, 0
	v_mov_b32_e32 v10, 0
	s_and_saveexec_b64 s[26:27], s[28:29]
	s_cbranch_execz .LBB58_13
; %bb.15:                               ;   in Loop: Header=BB58_14 Depth=2
	s_and_b64 vcc, exec, s[10:11]
	s_cbranch_vccz .LBB58_17
; %bb.16:                               ;   in Loop: Header=BB58_14 Depth=2
	v_add_u32_e32 v9, v25, v11
	v_mad_u64_u32 v[9:10], s[28:29], v9, s33, v[0:1]
	s_cbranch_execnz .LBB58_12
	s_branch .LBB58_18
.LBB58_17:                              ;   in Loop: Header=BB58_14 Depth=2
                                        ; implicit-def: $vgpr9
.LBB58_18:                              ;   in Loop: Header=BB58_14 Depth=2
	v_add_u32_e32 v9, v18, v25
	s_branch .LBB58_12
.LBB58_19:                              ;   in Loop: Header=BB58_11 Depth=1
	s_or_b64 exec, exec, s[6:7]
	v_subrev_u32_e32 v9, s8, v6
	v_cmp_lt_i32_e32 vcc, v9, v1
	s_and_saveexec_b64 s[26:27], vcc
	s_cbranch_execz .LBB58_10
; %bb.20:                               ;   in Loop: Header=BB58_11 Depth=1
	v_ashrrev_i32_e32 v10, 31, v9
	v_lshlrev_b64 v[10:11], 2, v[9:10]
	v_mov_b32_e32 v6, s15
	v_add_co_u32_e64 v10, s[6:7], s14, v10
	v_addc_co_u32_e64 v11, s[6:7], v6, v11, s[6:7]
	global_load_dword v6, v[10:11], off glc
	s_waitcnt vmcnt(0)
	v_cmp_eq_u32_e64 s[6:7], 0, v6
	s_and_saveexec_b64 s[28:29], s[6:7]
	s_cbranch_execz .LBB58_23
; %bb.21:                               ;   in Loop: Header=BB58_11 Depth=1
	s_mov_b64 s[30:31], 0
.LBB58_22:                              ;   Parent Loop BB58_11 Depth=1
                                        ; =>  This Inner Loop Header: Depth=2
	global_load_dword v6, v[10:11], off glc
	s_waitcnt vmcnt(0)
	v_cmp_ne_u32_e64 s[6:7], 0, v6
	s_or_b64 s[30:31], s[6:7], s[30:31]
	s_andn2_b64 exec, exec, s[30:31]
	s_cbranch_execnz .LBB58_22
.LBB58_23:                              ;   in Loop: Header=BB58_11 Depth=1
	s_or_b64 exec, exec, s[28:29]
	s_waitcnt lgkmcnt(0)
	buffer_wbinvl1_vol
	s_and_saveexec_b64 s[28:29], s[4:5]
	s_cbranch_execz .LBB58_27
; %bb.24:                               ;   in Loop: Header=BB58_11 Depth=1
	v_mov_b32_e32 v11, 0
	v_mov_b32_e32 v10, 0
	s_and_saveexec_b64 s[30:31], s[0:1]
	s_cbranch_execz .LBB58_26
; %bb.25:                               ;   in Loop: Header=BB58_11 Depth=1
	v_mad_u64_u32 v[10:11], s[6:7], v9, s33, v[4:5]
	v_mov_b32_e32 v6, s13
	v_ashrrev_i32_e32 v11, 31, v10
	v_lshlrev_b64 v[10:11], 3, v[10:11]
	v_add_co_u32_e64 v10, s[6:7], s12, v10
	v_addc_co_u32_e64 v11, s[6:7], v6, v11, s[6:7]
	global_load_dwordx2 v[10:11], v[10:11], off
.LBB58_26:                              ;   in Loop: Header=BB58_11 Depth=1
	s_or_b64 exec, exec, s[30:31]
	s_waitcnt vmcnt(0)
	ds_write_b64 v16, v[10:11]
.LBB58_27:                              ;   in Loop: Header=BB58_11 Depth=1
	s_or_b64 exec, exec, s[28:29]
	s_waitcnt lgkmcnt(0)
	s_and_saveexec_b64 s[6:7], s[0:1]
	s_cbranch_execz .LBB58_9
; %bb.28:                               ;   in Loop: Header=BB58_11 Depth=1
	ds_read2_b64 v[24:27], v17 offset1:32
	ds_read_b128 v[28:31], v13
	ds_read_b128 v[32:35], v13 offset:16
	ds_read_b128 v[36:39], v13 offset:32
	ds_read_b128 v[40:43], v13 offset:48
	ds_read2_b64 v[44:47], v17 offset0:64 offset1:96
	s_waitcnt lgkmcnt(4)
	v_fma_f32 v6, -v24, v28, v7
	v_fma_f32 v7, -v25, v28, v8
	v_fmac_f32_e32 v6, v25, v29
	v_fma_f32 v7, -v24, v29, v7
	v_fma_f32 v6, -v26, v30, v6
	v_fma_f32 v7, -v27, v30, v7
	v_fmac_f32_e32 v6, v27, v31
	v_fma_f32 v7, -v26, v31, v7
	ds_read2_b64 v[24:27], v17 offset0:128 offset1:160
	s_waitcnt lgkmcnt(1)
	v_fma_f32 v6, -v44, v32, v6
	v_fma_f32 v7, -v45, v32, v7
	v_fmac_f32_e32 v6, v45, v33
	v_fma_f32 v7, -v44, v33, v7
	v_fma_f32 v6, -v46, v34, v6
	v_fma_f32 v7, -v47, v34, v7
	v_fmac_f32_e32 v6, v47, v35
	v_fma_f32 v7, -v46, v35, v7
	;; [unrolled: 10-line block ×3, first 2 shown]
	ds_read2_b64 v[24:27], v21 offset1:32
	ds_read_b128 v[32:35], v13 offset:64
	s_waitcnt lgkmcnt(2)
	v_fma_f32 v6, -v28, v40, v6
	v_fma_f32 v7, -v29, v40, v7
	v_fmac_f32_e32 v6, v29, v41
	v_fma_f32 v7, -v28, v41, v7
	v_fma_f32 v6, -v30, v42, v6
	v_fma_f32 v7, -v31, v42, v7
	v_fmac_f32_e32 v6, v31, v43
	v_fma_f32 v7, -v30, v43, v7
	ds_read_b128 v[28:31], v13 offset:80
	ds_read2_b64 v[36:39], v21 offset0:64 offset1:96
	s_waitcnt lgkmcnt(2)
	v_fma_f32 v6, -v24, v32, v6
	v_fma_f32 v7, -v25, v32, v7
	v_fmac_f32_e32 v6, v25, v33
	v_fma_f32 v7, -v24, v33, v7
	v_fma_f32 v6, -v26, v34, v6
	v_fma_f32 v7, -v27, v34, v7
	v_fmac_f32_e32 v6, v27, v35
	v_fma_f32 v7, -v26, v35, v7
	ds_read2_b64 v[24:27], v21 offset0:128 offset1:160
	ds_read_b128 v[32:35], v13 offset:96
	s_waitcnt lgkmcnt(2)
	v_fma_f32 v6, -v36, v28, v6
	v_fma_f32 v7, -v37, v28, v7
	v_fmac_f32_e32 v6, v37, v29
	v_fma_f32 v7, -v36, v29, v7
	v_fma_f32 v6, -v38, v30, v6
	v_fma_f32 v7, -v39, v30, v7
	v_fmac_f32_e32 v6, v39, v31
	v_fma_f32 v7, -v38, v31, v7
	ds_read_b128 v[28:31], v13 offset:112
	ds_read2_b64 v[36:39], v21 offset0:192 offset1:224
	s_waitcnt lgkmcnt(2)
	v_fma_f32 v6, -v24, v32, v6
	v_fma_f32 v7, -v25, v32, v7
	v_fmac_f32_e32 v6, v25, v33
	v_fma_f32 v7, -v24, v33, v7
	v_fma_f32 v6, -v26, v34, v6
	v_fma_f32 v7, -v27, v34, v7
	v_fmac_f32_e32 v6, v27, v35
	v_fma_f32 v7, -v26, v35, v7
	ds_read2_b64 v[24:27], v22 offset1:32
	ds_read_b128 v[32:35], v13 offset:128
	s_waitcnt lgkmcnt(2)
	v_fma_f32 v6, -v36, v28, v6
	v_fma_f32 v7, -v37, v28, v7
	v_fmac_f32_e32 v6, v37, v29
	v_fma_f32 v7, -v36, v29, v7
	v_fma_f32 v6, -v38, v30, v6
	v_fma_f32 v7, -v39, v30, v7
	v_fmac_f32_e32 v6, v39, v31
	v_fma_f32 v7, -v38, v31, v7
	ds_read_b128 v[28:31], v13 offset:144
	ds_read2_b64 v[36:39], v22 offset0:64 offset1:96
	s_waitcnt lgkmcnt(2)
	v_fma_f32 v6, -v24, v32, v6
	v_fma_f32 v7, -v25, v32, v7
	v_fmac_f32_e32 v6, v25, v33
	v_fma_f32 v7, -v24, v33, v7
	v_fma_f32 v6, -v26, v34, v6
	v_fma_f32 v7, -v27, v34, v7
	v_fmac_f32_e32 v6, v27, v35
	v_fma_f32 v7, -v26, v35, v7
	ds_read2_b64 v[24:27], v22 offset0:128 offset1:160
	ds_read_b128 v[32:35], v13 offset:160
	s_waitcnt lgkmcnt(2)
	v_fma_f32 v6, -v36, v28, v6
	v_fma_f32 v7, -v37, v28, v7
	v_fmac_f32_e32 v6, v37, v29
	v_fma_f32 v7, -v36, v29, v7
	v_fma_f32 v6, -v38, v30, v6
	v_fma_f32 v7, -v39, v30, v7
	v_fmac_f32_e32 v6, v39, v31
	v_fma_f32 v7, -v38, v31, v7
	ds_read_b128 v[28:31], v13 offset:176
	ds_read2_b64 v[36:39], v22 offset0:192 offset1:224
	s_waitcnt lgkmcnt(2)
	v_fma_f32 v6, -v24, v32, v6
	v_fma_f32 v7, -v25, v32, v7
	v_fmac_f32_e32 v6, v25, v33
	v_fma_f32 v7, -v24, v33, v7
	v_fma_f32 v6, -v26, v34, v6
	v_fma_f32 v7, -v27, v34, v7
	v_fmac_f32_e32 v6, v27, v35
	v_fma_f32 v7, -v26, v35, v7
	;; [unrolled: 44-line block ×3, first 2 shown]
	s_waitcnt lgkmcnt(0)
	v_fma_f32 v6, -v36, v28, v6
	v_fma_f32 v7, -v37, v28, v7
	v_fmac_f32_e32 v6, v37, v29
	v_fma_f32 v8, -v36, v29, v7
	v_fma_f32 v7, -v38, v30, v6
	;; [unrolled: 1-line block ×3, first 2 shown]
	v_fmac_f32_e32 v7, v39, v31
	v_fma_f32 v8, -v38, v31, v6
	s_branch .LBB58_9
.LBB58_29:
	s_or_b64 exec, exec, s[24:25]
.LBB58_30:
	s_or_b64 exec, exec, s[22:23]
	s_cmp_gt_i32 s33, 0
	v_cmp_eq_u32_e32 vcc, v9, v1
	s_cselect_b64 s[2:3], -1, 0
	s_mov_b32 s18, 0
	s_and_b64 s[4:5], s[2:3], vcc
	s_mov_b64 s[2:3], 0
	s_and_saveexec_b64 s[6:7], s[4:5]
	s_cbranch_execnz .LBB58_34
; %bb.31:
	s_or_b64 exec, exec, s[6:7]
	s_and_saveexec_b64 s[4:5], s[0:1]
	s_cbranch_execnz .LBB58_48
.LBB58_32:
	s_or_b64 exec, exec, s[4:5]
	v_cmp_eq_u32_e32 vcc, 0, v4
	s_and_b64 exec, exec, vcc
	s_cbranch_execnz .LBB58_49
.LBB58_33:
	s_endpgm
.LBB58_34:
	s_cmp_eq_u32 s9, 0
	v_mbcnt_lo_u32_b32 v0, -1, 0
	s_cselect_b64 s[2:3], -1, 0
	v_mbcnt_hi_u32_b32 v0, -1, v0
	v_cndmask_b32_e64 v5, 0, 1, s[2:3]
	v_and_b32_e32 v0, 64, v0
	v_lshl_add_u32 v9, v4, 3, v12
	s_mov_b64 s[16:17], 0
	v_cmp_ne_u32_e64 s[2:3], 1, v5
                                        ; implicit-def: $sgpr10_sgpr11
	s_and_b64 vcc, exec, s[2:3]
	s_cbranch_vccz .LBB58_36
.LBB58_35:
	v_mov_b32_e32 v5, 1.0
	v_mov_b32_e32 v6, 0
	s_branch .LBB58_37
.LBB58_36:
	ds_read_b64 v[5:6], v12
.LBB58_37:
	v_and_or_b32 v10, s18, 63, v0
	v_lshlrev_b32_e32 v10, 2, v10
	ds_bpermute_b32 v11, v10, v7
	ds_bpermute_b32 v10, v10, v8
	s_waitcnt lgkmcnt(0)
	v_cmp_neq_f32_e32 vcc, 0, v5
	v_cmp_neq_f32_e64 s[4:5], 0, v6
	s_or_b64 s[22:23], vcc, s[4:5]
	s_or_b64 s[10:11], s[10:11], exec
	s_and_saveexec_b64 s[4:5], s[22:23]
	s_cbranch_execz .LBB58_39
; %bb.38:
	v_mul_f32_e32 v13, v6, v6
	v_fmac_f32_e32 v13, v5, v5
	v_div_scale_f32 v14, s[22:23], v13, v13, 1.0
	v_div_scale_f32 v15, vcc, 1.0, v13, 1.0
	s_andn2_b64 s[10:11], s[10:11], exec
	s_and_b64 s[16:17], s[16:17], exec
	s_or_b64 s[10:11], s[10:11], s[16:17]
	v_rcp_f32_e32 v16, v14
	v_fma_f32 v17, -v14, v16, 1.0
	v_fmac_f32_e32 v16, v17, v16
	v_mul_f32_e32 v17, v15, v16
	v_fma_f32 v18, -v14, v17, v15
	v_fmac_f32_e32 v17, v18, v16
	v_fma_f32 v14, -v14, v17, v15
	v_div_fmas_f32 v14, v14, v16, v17
	v_mul_f32_e32 v15, v6, v10
	v_mul_f32_e64 v6, v6, -v11
	v_fmac_f32_e32 v15, v11, v5
	v_fmac_f32_e32 v6, v10, v5
	v_div_fixup_f32 v5, v14, v13, 1.0
	v_mul_f32_e32 v11, v5, v15
	v_mul_f32_e32 v10, v5, v6
.LBB58_39:
	s_or_b64 exec, exec, s[4:5]
	s_and_saveexec_b64 s[4:5], s[0:1]
	s_cbranch_execz .LBB58_45
; %bb.40:
	v_cmp_ge_u32_e32 vcc, s18, v4
	s_and_saveexec_b64 s[16:17], vcc
	s_xor_b64 s[16:17], exec, s[16:17]
; %bb.41:
	v_cmp_eq_u32_e32 vcc, s18, v4
	v_cndmask_b32_e32 v7, v7, v11, vcc
	v_cndmask_b32_e32 v8, v8, v10, vcc
                                        ; implicit-def: $vgpr11
                                        ; implicit-def: $vgpr10
; %bb.42:
	s_andn2_saveexec_b64 s[16:17], s[16:17]
	s_cbranch_execz .LBB58_44
; %bb.43:
	ds_read_b64 v[5:6], v9
	s_waitcnt lgkmcnt(0)
	v_fma_f32 v7, -v11, v5, v7
	v_fma_f32 v5, -v10, v5, v8
	v_fmac_f32_e32 v7, v10, v6
	v_fma_f32 v8, -v11, v6, v5
.LBB58_44:
	s_or_b64 exec, exec, s[16:17]
.LBB58_45:
	s_or_b64 exec, exec, s[4:5]
	s_add_i32 s18, s18, 1
	v_add_u32_e32 v9, 0x100, v9
	s_cmp_lg_u32 s33, s18
	v_add_u32_e32 v12, 0x108, v12
	s_cbranch_scc0 .LBB58_47
; %bb.46:
	s_mov_b64 s[16:17], s[10:11]
	s_and_b64 vcc, exec, s[2:3]
	s_cbranch_vccnz .LBB58_35
	s_branch .LBB58_36
.LBB58_47:
	s_and_b64 s[2:3], s[10:11], exec
	s_or_b64 exec, exec, s[6:7]
	s_and_saveexec_b64 s[4:5], s[0:1]
	s_cbranch_execz .LBB58_32
.LBB58_48:
	v_mad_u64_u32 v[5:6], s[0:1], v1, s33, v[4:5]
	v_mov_b32_e32 v0, s13
	v_ashrrev_i32_e32 v6, 31, v5
	v_lshlrev_b64 v[5:6], 3, v[5:6]
	v_add_co_u32_e32 v5, vcc, s12, v5
	v_addc_co_u32_e32 v6, vcc, v0, v6, vcc
	global_store_dwordx2 v[5:6], v[7:8], off
	s_or_b64 exec, exec, s[4:5]
	v_cmp_eq_u32_e32 vcc, 0, v4
	s_and_b64 exec, exec, vcc
	s_cbranch_execz .LBB58_33
.LBB58_49:
	v_mov_b32_e32 v0, s15
	v_add_co_u32_e32 v2, vcc, s14, v2
	v_addc_co_u32_e32 v3, vcc, v0, v3, vcc
	v_mov_b32_e32 v0, 1
	s_waitcnt vmcnt(0) lgkmcnt(0)
	global_store_dword v[2:3], v0, off
	s_and_b64 exec, exec, s[2:3]
	s_cbranch_execz .LBB58_33
; %bb.50:
	s_mov_b64 s[0:1], exec
	v_add_u32_e32 v0, s8, v1
	s_brev_b32 s2, -2
.LBB58_51:                              ; =>This Inner Loop Header: Depth=1
	s_ff1_i32_b64 s3, s[0:1]
	v_readlane_b32 s6, v0, s3
	s_lshl_b64 s[4:5], 1, s3
	s_min_i32 s2, s2, s6
	s_andn2_b64 s[0:1], s[0:1], s[4:5]
	s_cmp_lg_u64 s[0:1], 0
	s_cbranch_scc1 .LBB58_51
; %bb.52:
	v_mbcnt_lo_u32_b32 v0, exec_lo, 0
	v_mbcnt_hi_u32_b32 v0, exec_hi, v0
	v_cmp_eq_u32_e32 vcc, 0, v0
	s_and_saveexec_b64 s[0:1], vcc
	s_xor_b64 s[0:1], exec, s[0:1]
	s_cbranch_execz .LBB58_33
; %bb.53:
	v_mov_b32_e32 v0, 0
	v_mov_b32_e32 v1, s2
	global_atomic_smin v0, v1, s[20:21]
	s_endpgm
	.section	.rodata,"a",@progbits
	.p2align	6, 0x0
	.amdhsa_kernel _ZN9rocsparseL18bsrsv_lower_sharedILj128ELj64ELi32ELb0E21rocsparse_complex_numIfEEEviNS_24const_host_device_scalarIT3_EEPKiS7_PKS4_iS9_PS4_PiSB_SB_21rocsparse_index_base_20rocsparse_diag_type_20rocsparse_direction_b
		.amdhsa_group_segment_fixed_size 16896
		.amdhsa_private_segment_fixed_size 0
		.amdhsa_kernarg_size 104
		.amdhsa_user_sgpr_count 6
		.amdhsa_user_sgpr_private_segment_buffer 1
		.amdhsa_user_sgpr_dispatch_ptr 0
		.amdhsa_user_sgpr_queue_ptr 0
		.amdhsa_user_sgpr_kernarg_segment_ptr 1
		.amdhsa_user_sgpr_dispatch_id 0
		.amdhsa_user_sgpr_flat_scratch_init 0
		.amdhsa_user_sgpr_private_segment_size 0
		.amdhsa_uses_dynamic_stack 0
		.amdhsa_system_sgpr_private_segment_wavefront_offset 0
		.amdhsa_system_sgpr_workgroup_id_x 1
		.amdhsa_system_sgpr_workgroup_id_y 0
		.amdhsa_system_sgpr_workgroup_id_z 0
		.amdhsa_system_sgpr_workgroup_info 0
		.amdhsa_system_vgpr_workitem_id 0
		.amdhsa_next_free_vgpr 85
		.amdhsa_next_free_sgpr 98
		.amdhsa_reserve_vcc 1
		.amdhsa_reserve_flat_scratch 0
		.amdhsa_float_round_mode_32 0
		.amdhsa_float_round_mode_16_64 0
		.amdhsa_float_denorm_mode_32 3
		.amdhsa_float_denorm_mode_16_64 3
		.amdhsa_dx10_clamp 1
		.amdhsa_ieee_mode 1
		.amdhsa_fp16_overflow 0
		.amdhsa_exception_fp_ieee_invalid_op 0
		.amdhsa_exception_fp_denorm_src 0
		.amdhsa_exception_fp_ieee_div_zero 0
		.amdhsa_exception_fp_ieee_overflow 0
		.amdhsa_exception_fp_ieee_underflow 0
		.amdhsa_exception_fp_ieee_inexact 0
		.amdhsa_exception_int_div_zero 0
	.end_amdhsa_kernel
	.section	.text._ZN9rocsparseL18bsrsv_lower_sharedILj128ELj64ELi32ELb0E21rocsparse_complex_numIfEEEviNS_24const_host_device_scalarIT3_EEPKiS7_PKS4_iS9_PS4_PiSB_SB_21rocsparse_index_base_20rocsparse_diag_type_20rocsparse_direction_b,"axG",@progbits,_ZN9rocsparseL18bsrsv_lower_sharedILj128ELj64ELi32ELb0E21rocsparse_complex_numIfEEEviNS_24const_host_device_scalarIT3_EEPKiS7_PKS4_iS9_PS4_PiSB_SB_21rocsparse_index_base_20rocsparse_diag_type_20rocsparse_direction_b,comdat
.Lfunc_end58:
	.size	_ZN9rocsparseL18bsrsv_lower_sharedILj128ELj64ELi32ELb0E21rocsparse_complex_numIfEEEviNS_24const_host_device_scalarIT3_EEPKiS7_PKS4_iS9_PS4_PiSB_SB_21rocsparse_index_base_20rocsparse_diag_type_20rocsparse_direction_b, .Lfunc_end58-_ZN9rocsparseL18bsrsv_lower_sharedILj128ELj64ELi32ELb0E21rocsparse_complex_numIfEEEviNS_24const_host_device_scalarIT3_EEPKiS7_PKS4_iS9_PS4_PiSB_SB_21rocsparse_index_base_20rocsparse_diag_type_20rocsparse_direction_b
                                        ; -- End function
	.set _ZN9rocsparseL18bsrsv_lower_sharedILj128ELj64ELi32ELb0E21rocsparse_complex_numIfEEEviNS_24const_host_device_scalarIT3_EEPKiS7_PKS4_iS9_PS4_PiSB_SB_21rocsparse_index_base_20rocsparse_diag_type_20rocsparse_direction_b.num_vgpr, 48
	.set _ZN9rocsparseL18bsrsv_lower_sharedILj128ELj64ELi32ELb0E21rocsparse_complex_numIfEEEviNS_24const_host_device_scalarIT3_EEPKiS7_PKS4_iS9_PS4_PiSB_SB_21rocsparse_index_base_20rocsparse_diag_type_20rocsparse_direction_b.num_agpr, 0
	.set _ZN9rocsparseL18bsrsv_lower_sharedILj128ELj64ELi32ELb0E21rocsparse_complex_numIfEEEviNS_24const_host_device_scalarIT3_EEPKiS7_PKS4_iS9_PS4_PiSB_SB_21rocsparse_index_base_20rocsparse_diag_type_20rocsparse_direction_b.numbered_sgpr, 35
	.set _ZN9rocsparseL18bsrsv_lower_sharedILj128ELj64ELi32ELb0E21rocsparse_complex_numIfEEEviNS_24const_host_device_scalarIT3_EEPKiS7_PKS4_iS9_PS4_PiSB_SB_21rocsparse_index_base_20rocsparse_diag_type_20rocsparse_direction_b.num_named_barrier, 0
	.set _ZN9rocsparseL18bsrsv_lower_sharedILj128ELj64ELi32ELb0E21rocsparse_complex_numIfEEEviNS_24const_host_device_scalarIT3_EEPKiS7_PKS4_iS9_PS4_PiSB_SB_21rocsparse_index_base_20rocsparse_diag_type_20rocsparse_direction_b.private_seg_size, 0
	.set _ZN9rocsparseL18bsrsv_lower_sharedILj128ELj64ELi32ELb0E21rocsparse_complex_numIfEEEviNS_24const_host_device_scalarIT3_EEPKiS7_PKS4_iS9_PS4_PiSB_SB_21rocsparse_index_base_20rocsparse_diag_type_20rocsparse_direction_b.uses_vcc, 1
	.set _ZN9rocsparseL18bsrsv_lower_sharedILj128ELj64ELi32ELb0E21rocsparse_complex_numIfEEEviNS_24const_host_device_scalarIT3_EEPKiS7_PKS4_iS9_PS4_PiSB_SB_21rocsparse_index_base_20rocsparse_diag_type_20rocsparse_direction_b.uses_flat_scratch, 0
	.set _ZN9rocsparseL18bsrsv_lower_sharedILj128ELj64ELi32ELb0E21rocsparse_complex_numIfEEEviNS_24const_host_device_scalarIT3_EEPKiS7_PKS4_iS9_PS4_PiSB_SB_21rocsparse_index_base_20rocsparse_diag_type_20rocsparse_direction_b.has_dyn_sized_stack, 0
	.set _ZN9rocsparseL18bsrsv_lower_sharedILj128ELj64ELi32ELb0E21rocsparse_complex_numIfEEEviNS_24const_host_device_scalarIT3_EEPKiS7_PKS4_iS9_PS4_PiSB_SB_21rocsparse_index_base_20rocsparse_diag_type_20rocsparse_direction_b.has_recursion, 0
	.set _ZN9rocsparseL18bsrsv_lower_sharedILj128ELj64ELi32ELb0E21rocsparse_complex_numIfEEEviNS_24const_host_device_scalarIT3_EEPKiS7_PKS4_iS9_PS4_PiSB_SB_21rocsparse_index_base_20rocsparse_diag_type_20rocsparse_direction_b.has_indirect_call, 0
	.section	.AMDGPU.csdata,"",@progbits
; Kernel info:
; codeLenInByte = 2868
; TotalNumSgprs: 39
; NumVgprs: 48
; ScratchSize: 0
; MemoryBound: 0
; FloatMode: 240
; IeeeMode: 1
; LDSByteSize: 16896 bytes/workgroup (compile time only)
; SGPRBlocks: 12
; VGPRBlocks: 21
; NumSGPRsForWavesPerEU: 102
; NumVGPRsForWavesPerEU: 85
; Occupancy: 2
; WaveLimiterHint : 1
; COMPUTE_PGM_RSRC2:SCRATCH_EN: 0
; COMPUTE_PGM_RSRC2:USER_SGPR: 6
; COMPUTE_PGM_RSRC2:TRAP_HANDLER: 0
; COMPUTE_PGM_RSRC2:TGID_X_EN: 1
; COMPUTE_PGM_RSRC2:TGID_Y_EN: 0
; COMPUTE_PGM_RSRC2:TGID_Z_EN: 0
; COMPUTE_PGM_RSRC2:TIDIG_COMP_CNT: 0
	.section	.text._ZN9rocsparseL18bsrsv_upper_sharedILj128ELj64ELi32ELb1E21rocsparse_complex_numIfEEEviNS_24const_host_device_scalarIT3_EEPKiS7_PKS4_iS9_PS4_PiSB_SB_21rocsparse_index_base_20rocsparse_diag_type_20rocsparse_direction_b,"axG",@progbits,_ZN9rocsparseL18bsrsv_upper_sharedILj128ELj64ELi32ELb1E21rocsparse_complex_numIfEEEviNS_24const_host_device_scalarIT3_EEPKiS7_PKS4_iS9_PS4_PiSB_SB_21rocsparse_index_base_20rocsparse_diag_type_20rocsparse_direction_b,comdat
	.globl	_ZN9rocsparseL18bsrsv_upper_sharedILj128ELj64ELi32ELb1E21rocsparse_complex_numIfEEEviNS_24const_host_device_scalarIT3_EEPKiS7_PKS4_iS9_PS4_PiSB_SB_21rocsparse_index_base_20rocsparse_diag_type_20rocsparse_direction_b ; -- Begin function _ZN9rocsparseL18bsrsv_upper_sharedILj128ELj64ELi32ELb1E21rocsparse_complex_numIfEEEviNS_24const_host_device_scalarIT3_EEPKiS7_PKS4_iS9_PS4_PiSB_SB_21rocsparse_index_base_20rocsparse_diag_type_20rocsparse_direction_b
	.p2align	8
	.type	_ZN9rocsparseL18bsrsv_upper_sharedILj128ELj64ELi32ELb1E21rocsparse_complex_numIfEEEviNS_24const_host_device_scalarIT3_EEPKiS7_PKS4_iS9_PS4_PiSB_SB_21rocsparse_index_base_20rocsparse_diag_type_20rocsparse_direction_b,@function
_ZN9rocsparseL18bsrsv_upper_sharedILj128ELj64ELi32ELb1E21rocsparse_complex_numIfEEEviNS_24const_host_device_scalarIT3_EEPKiS7_PKS4_iS9_PS4_PiSB_SB_21rocsparse_index_base_20rocsparse_diag_type_20rocsparse_direction_b: ; @_ZN9rocsparseL18bsrsv_upper_sharedILj128ELj64ELi32ELb1E21rocsparse_complex_numIfEEEviNS_24const_host_device_scalarIT3_EEPKiS7_PKS4_iS9_PS4_PiSB_SB_21rocsparse_index_base_20rocsparse_diag_type_20rocsparse_direction_b
; %bb.0:
	s_load_dwordx4 s[8:11], s[4:5], 0x58
	s_load_dwordx2 s[2:3], s[4:5], 0x8
	s_waitcnt lgkmcnt(0)
	s_bitcmp1_b32 s11, 0
	s_cselect_b64 s[12:13], -1, 0
	s_xor_b64 s[0:1], s[12:13], -1
	s_and_b64 vcc, exec, s[12:13]
	s_mov_b32 s11, s2
	s_cbranch_vccnz .LBB59_2
; %bb.1:
	s_load_dword s11, s[2:3], 0x0
.LBB59_2:
	s_andn2_b64 vcc, exec, s[0:1]
	s_cbranch_vccnz .LBB59_4
; %bb.3:
	s_load_dword s3, s[2:3], 0x4
.LBB59_4:
	s_nop 0
	s_load_dword s2, s[4:5], 0x0
	s_lshl_b32 s0, s6, 1
	v_lshrrev_b32_e32 v11, 6, v0
	s_and_b32 s0, s0, 0x3fffffe
	v_or_b32_e32 v1, s0, v11
	s_waitcnt lgkmcnt(0)
	v_cmp_gt_i32_e32 vcc, s2, v1
	s_and_saveexec_b64 s[0:1], vcc
	s_cbranch_execz .LBB59_35
; %bb.5:
	s_load_dwordx2 s[0:1], s[4:5], 0x48
	s_load_dwordx4 s[12:15], s[4:5], 0x38
	v_lshlrev_b32_e32 v1, 2, v1
	v_mov_b32_e32 v9, 0
	v_mov_b32_e32 v10, 0
	s_waitcnt lgkmcnt(0)
	global_load_dword v1, v1, s[0:1]
	s_load_dwordx2 s[0:1], s[4:5], 0x10
	s_load_dword s33, s[4:5], 0x28
	s_waitcnt lgkmcnt(0)
	v_mov_b32_e32 v5, s1
	s_waitcnt vmcnt(0)
	v_ashrrev_i32_e32 v2, 31, v1
	v_lshlrev_b64 v[2:3], 2, v[1:2]
	v_add_co_u32_e32 v4, vcc, s0, v2
	v_addc_co_u32_e32 v5, vcc, v5, v3, vcc
	global_load_dwordx2 v[5:6], v[4:5], off
	v_and_b32_e32 v4, 63, v0
	v_cmp_gt_i32_e64 s[0:1], s33, v4
	s_and_saveexec_b64 s[6:7], s[0:1]
	s_cbranch_execz .LBB59_7
; %bb.6:
	s_waitcnt vmcnt(0)
	v_mad_u64_u32 v[7:8], s[16:17], v1, s33, v[4:5]
	s_load_dwordx2 s[16:17], s[4:5], 0x30
	v_ashrrev_i32_e32 v8, 31, v7
	v_lshlrev_b64 v[7:8], 3, v[7:8]
	s_waitcnt lgkmcnt(0)
	v_mov_b32_e32 v9, s17
	v_add_co_u32_e32 v7, vcc, s16, v7
	v_addc_co_u32_e32 v8, vcc, v9, v8, vcc
	global_load_dwordx2 v[9:10], v[7:8], off
.LBB59_7:
	s_or_b64 exec, exec, s[6:7]
	s_load_dwordx2 s[20:21], s[4:5], 0x50
	s_waitcnt vmcnt(0)
	v_subrev_u32_e32 v14, s8, v5
	v_mul_f32_e64 v7, v10, -s3
	v_mul_f32_e32 v8, s11, v10
	v_xad_u32 v5, s8, -1, v6
	v_fmac_f32_e32 v7, s11, v9
	v_fmac_f32_e32 v8, s3, v9
	v_lshlrev_b32_e32 v12, 13, v11
	v_cmp_ge_i32_e32 vcc, v5, v14
	v_mov_b32_e32 v9, s2
	v_lshlrev_b32_e32 v13, 3, v4
	s_and_saveexec_b64 s[22:23], vcc
	s_cbranch_execz .LBB59_32
; %bb.8:
	v_and_b32_e32 v0, 31, v0
	s_load_dwordx4 s[16:19], s[4:5], 0x18
	v_mad_u64_u32 v[9:10], s[4:5], s33, v5, v[0:1]
	v_mov_b32_e32 v6, 0x4000
	v_lshrrev_b32_e32 v16, 5, v4
	v_mul_lo_u32 v19, s33, v9
	v_lshl_or_b32 v15, v11, 8, v6
	s_cmp_lg_u32 s10, 0
	v_add_u32_e32 v18, v12, v13
	v_lshlrev_b32_e32 v6, 8, v16
	v_lshlrev_b32_e32 v9, 3, v0
	v_cmp_gt_i32_e64 s[2:3], s33, v0
	s_cselect_b64 s[10:11], -1, 0
	v_cmp_gt_u32_e64 s[4:5], 32, v4
	v_add_u32_e32 v17, v15, v13
	s_mul_i32 s34, s33, s33
	v_add3_u32 v20, v12, v6, v9
	s_mov_b64 s[24:25], 0
	s_waitcnt lgkmcnt(0)
	v_mov_b32_e32 v21, s17
	v_add_u32_e32 v22, 0x800, v18
	v_add_u32_e32 v23, 0x1000, v18
	;; [unrolled: 1-line block ×3, first 2 shown]
	s_branch .LBB59_11
.LBB59_9:                               ;   in Loop: Header=BB59_11 Depth=1
	s_or_b64 exec, exec, s[6:7]
.LBB59_10:                              ;   in Loop: Header=BB59_11 Depth=1
	s_or_b64 exec, exec, s[26:27]
	v_cmp_le_i32_e64 s[6:7], v5, v14
	s_xor_b64 s[26:27], vcc, -1
	s_or_b64 s[6:7], s[26:27], s[6:7]
	v_add_u32_e32 v6, -1, v5
	s_and_b64 s[6:7], exec, s[6:7]
	v_subrev_u32_e32 v19, s34, v19
	s_or_b64 s[24:25], s[6:7], s[24:25]
	v_mov_b32_e32 v5, v6
	s_andn2_b64 exec, exec, s[24:25]
	s_cbranch_execz .LBB59_31
.LBB59_11:                              ; =>This Loop Header: Depth=1
                                        ;     Child Loop BB59_14 Depth 2
                                        ;     Child Loop BB59_23 Depth 2
                                        ;       Child Loop BB59_24 Depth 3
	v_ashrrev_i32_e32 v6, 31, v5
	v_lshlrev_b64 v[9:10], 2, v[5:6]
	v_mul_lo_u32 v11, v5, s33
	v_add_co_u32_e32 v9, vcc, s16, v9
	v_addc_co_u32_e32 v10, vcc, v21, v10, vcc
	global_load_dword v6, v[9:10], off
	s_mov_b64 s[6:7], 0
	v_mov_b32_e32 v25, v20
	v_mov_b32_e32 v26, v16
	s_branch .LBB59_14
.LBB59_12:                              ;   in Loop: Header=BB59_14 Depth=2
	v_ashrrev_i32_e32 v10, 31, v9
	v_lshlrev_b64 v[9:10], 3, v[9:10]
	v_mov_b32_e32 v27, s19
	v_add_co_u32_e32 v9, vcc, s18, v9
	v_addc_co_u32_e32 v10, vcc, v27, v10, vcc
	global_load_dwordx2 v[9:10], v[9:10], off
.LBB59_13:                              ;   in Loop: Header=BB59_14 Depth=2
	s_or_b64 exec, exec, s[26:27]
	s_waitcnt vmcnt(0)
	ds_write_b64 v25, v[9:10]
	v_add_u32_e32 v9, 2, v26
	v_cmp_lt_u32_e32 vcc, 29, v26
	v_add_u32_e32 v25, 0x200, v25
	s_or_b64 s[6:7], vcc, s[6:7]
	v_mov_b32_e32 v26, v9
	s_andn2_b64 exec, exec, s[6:7]
	s_cbranch_execz .LBB59_19
.LBB59_14:                              ;   Parent Loop BB59_11 Depth=1
                                        ; =>  This Inner Loop Header: Depth=2
	v_cmp_gt_i32_e32 vcc, s33, v26
	s_and_b64 s[28:29], s[2:3], vcc
	v_mov_b32_e32 v9, 0
	v_mov_b32_e32 v10, 0
	s_and_saveexec_b64 s[26:27], s[28:29]
	s_cbranch_execz .LBB59_13
; %bb.15:                               ;   in Loop: Header=BB59_14 Depth=2
	s_and_b64 vcc, exec, s[10:11]
	s_cbranch_vccz .LBB59_17
; %bb.16:                               ;   in Loop: Header=BB59_14 Depth=2
	v_add_u32_e32 v9, v26, v11
	v_mad_u64_u32 v[9:10], s[28:29], v9, s33, v[0:1]
	s_cbranch_execnz .LBB59_12
	s_branch .LBB59_18
.LBB59_17:                              ;   in Loop: Header=BB59_14 Depth=2
                                        ; implicit-def: $vgpr9
.LBB59_18:                              ;   in Loop: Header=BB59_14 Depth=2
	v_add_u32_e32 v9, v19, v26
	s_branch .LBB59_12
.LBB59_19:                              ;   in Loop: Header=BB59_11 Depth=1
	s_or_b64 exec, exec, s[6:7]
	v_subrev_u32_e32 v9, s8, v6
	v_cmp_gt_i32_e32 vcc, v9, v1
	s_and_saveexec_b64 s[26:27], vcc
	s_cbranch_execz .LBB59_10
; %bb.20:                               ;   in Loop: Header=BB59_11 Depth=1
	v_ashrrev_i32_e32 v10, 31, v9
	v_lshlrev_b64 v[10:11], 2, v[9:10]
	v_mov_b32_e32 v6, s15
	v_add_co_u32_e64 v10, s[6:7], s14, v10
	v_addc_co_u32_e64 v11, s[6:7], v6, v11, s[6:7]
	global_load_dword v6, v[10:11], off glc
	s_waitcnt vmcnt(0)
	v_cmp_eq_u32_e64 s[6:7], 0, v6
	s_and_saveexec_b64 s[28:29], s[6:7]
	s_cbranch_execz .LBB59_25
; %bb.21:                               ;   in Loop: Header=BB59_11 Depth=1
	s_mov_b32 s17, 0
	s_mov_b64 s[30:31], 0
	s_branch .LBB59_23
.LBB59_22:                              ;   in Loop: Header=BB59_23 Depth=2
	global_load_dword v6, v[10:11], off glc
	s_cmpk_lt_u32 s17, 0xf43
	s_cselect_b64 s[6:7], -1, 0
	s_cmp_lg_u64 s[6:7], 0
	s_addc_u32 s17, s17, 0
	s_waitcnt vmcnt(0)
	v_cmp_ne_u32_e64 s[6:7], 0, v6
	s_or_b64 s[30:31], s[6:7], s[30:31]
	s_andn2_b64 exec, exec, s[30:31]
	s_cbranch_execz .LBB59_25
.LBB59_23:                              ;   Parent Loop BB59_11 Depth=1
                                        ; =>  This Loop Header: Depth=2
                                        ;       Child Loop BB59_24 Depth 3
	s_cmp_eq_u32 s17, 0
	s_mov_b32 s6, s17
	s_cbranch_scc1 .LBB59_22
.LBB59_24:                              ;   Parent Loop BB59_11 Depth=1
                                        ;     Parent Loop BB59_23 Depth=2
                                        ; =>    This Inner Loop Header: Depth=3
	s_add_i32 s6, s6, -1
	s_cmp_eq_u32 s6, 0
	s_sleep 1
	s_cbranch_scc0 .LBB59_24
	s_branch .LBB59_22
.LBB59_25:                              ;   in Loop: Header=BB59_11 Depth=1
	s_or_b64 exec, exec, s[28:29]
	s_waitcnt lgkmcnt(0)
	buffer_wbinvl1_vol
	s_and_saveexec_b64 s[28:29], s[4:5]
	s_cbranch_execz .LBB59_29
; %bb.26:                               ;   in Loop: Header=BB59_11 Depth=1
	v_mov_b32_e32 v11, 0
	v_mov_b32_e32 v10, 0
	s_and_saveexec_b64 s[30:31], s[0:1]
	s_cbranch_execz .LBB59_28
; %bb.27:                               ;   in Loop: Header=BB59_11 Depth=1
	v_mad_u64_u32 v[10:11], s[6:7], v9, s33, v[4:5]
	v_mov_b32_e32 v6, s13
	v_ashrrev_i32_e32 v11, 31, v10
	v_lshlrev_b64 v[10:11], 3, v[10:11]
	v_add_co_u32_e64 v10, s[6:7], s12, v10
	v_addc_co_u32_e64 v11, s[6:7], v6, v11, s[6:7]
	global_load_dwordx2 v[10:11], v[10:11], off
.LBB59_28:                              ;   in Loop: Header=BB59_11 Depth=1
	s_or_b64 exec, exec, s[30:31]
	s_waitcnt vmcnt(0)
	ds_write_b64 v17, v[10:11]
.LBB59_29:                              ;   in Loop: Header=BB59_11 Depth=1
	s_or_b64 exec, exec, s[28:29]
	s_waitcnt lgkmcnt(0)
	s_and_saveexec_b64 s[6:7], s[0:1]
	s_cbranch_execz .LBB59_9
; %bb.30:                               ;   in Loop: Header=BB59_11 Depth=1
	ds_read2_b64 v[25:28], v18 offset1:32
	ds_read_b128 v[29:32], v15
	ds_read_b128 v[33:36], v15 offset:16
	ds_read_b128 v[37:40], v15 offset:32
	;; [unrolled: 1-line block ×3, first 2 shown]
	ds_read2_b64 v[45:48], v18 offset0:64 offset1:96
	s_waitcnt lgkmcnt(4)
	v_fma_f32 v6, -v25, v29, v7
	v_fma_f32 v7, -v26, v29, v8
	v_fmac_f32_e32 v6, v26, v30
	v_fma_f32 v7, -v25, v30, v7
	v_fma_f32 v6, -v27, v31, v6
	v_fma_f32 v7, -v28, v31, v7
	v_fmac_f32_e32 v6, v28, v32
	v_fma_f32 v7, -v27, v32, v7
	ds_read2_b64 v[25:28], v18 offset0:128 offset1:160
	s_waitcnt lgkmcnt(1)
	v_fma_f32 v6, -v45, v33, v6
	v_fma_f32 v7, -v46, v33, v7
	v_fmac_f32_e32 v6, v46, v34
	v_fma_f32 v7, -v45, v34, v7
	v_fma_f32 v6, -v47, v35, v6
	v_fma_f32 v7, -v48, v35, v7
	v_fmac_f32_e32 v6, v48, v36
	v_fma_f32 v7, -v47, v36, v7
	ds_read2_b64 v[29:32], v18 offset0:192 offset1:224
	s_waitcnt lgkmcnt(1)
	v_fma_f32 v6, -v25, v37, v6
	v_fma_f32 v7, -v26, v37, v7
	v_fmac_f32_e32 v6, v26, v38
	v_fma_f32 v7, -v25, v38, v7
	v_fma_f32 v6, -v27, v39, v6
	v_fma_f32 v7, -v28, v39, v7
	v_fmac_f32_e32 v6, v28, v40
	v_fma_f32 v7, -v27, v40, v7
	ds_read2_b64 v[25:28], v22 offset1:32
	ds_read_b128 v[33:36], v15 offset:64
	s_waitcnt lgkmcnt(2)
	v_fma_f32 v6, -v29, v41, v6
	v_fma_f32 v7, -v30, v41, v7
	v_fmac_f32_e32 v6, v30, v42
	v_fma_f32 v7, -v29, v42, v7
	v_fma_f32 v6, -v31, v43, v6
	v_fma_f32 v7, -v32, v43, v7
	v_fmac_f32_e32 v6, v32, v44
	v_fma_f32 v7, -v31, v44, v7
	ds_read_b128 v[29:32], v15 offset:80
	ds_read2_b64 v[37:40], v22 offset0:64 offset1:96
	s_waitcnt lgkmcnt(2)
	v_fma_f32 v6, -v25, v33, v6
	v_fma_f32 v7, -v26, v33, v7
	v_fmac_f32_e32 v6, v26, v34
	v_fma_f32 v7, -v25, v34, v7
	v_fma_f32 v6, -v27, v35, v6
	v_fma_f32 v7, -v28, v35, v7
	v_fmac_f32_e32 v6, v28, v36
	v_fma_f32 v7, -v27, v36, v7
	ds_read2_b64 v[25:28], v22 offset0:128 offset1:160
	ds_read_b128 v[33:36], v15 offset:96
	s_waitcnt lgkmcnt(2)
	v_fma_f32 v6, -v37, v29, v6
	v_fma_f32 v7, -v38, v29, v7
	v_fmac_f32_e32 v6, v38, v30
	v_fma_f32 v7, -v37, v30, v7
	v_fma_f32 v6, -v39, v31, v6
	v_fma_f32 v7, -v40, v31, v7
	v_fmac_f32_e32 v6, v40, v32
	v_fma_f32 v7, -v39, v32, v7
	ds_read_b128 v[29:32], v15 offset:112
	ds_read2_b64 v[37:40], v22 offset0:192 offset1:224
	s_waitcnt lgkmcnt(2)
	v_fma_f32 v6, -v25, v33, v6
	v_fma_f32 v7, -v26, v33, v7
	v_fmac_f32_e32 v6, v26, v34
	v_fma_f32 v7, -v25, v34, v7
	v_fma_f32 v6, -v27, v35, v6
	v_fma_f32 v7, -v28, v35, v7
	v_fmac_f32_e32 v6, v28, v36
	v_fma_f32 v7, -v27, v36, v7
	ds_read2_b64 v[25:28], v23 offset1:32
	ds_read_b128 v[33:36], v15 offset:128
	s_waitcnt lgkmcnt(2)
	v_fma_f32 v6, -v37, v29, v6
	v_fma_f32 v7, -v38, v29, v7
	v_fmac_f32_e32 v6, v38, v30
	v_fma_f32 v7, -v37, v30, v7
	v_fma_f32 v6, -v39, v31, v6
	v_fma_f32 v7, -v40, v31, v7
	v_fmac_f32_e32 v6, v40, v32
	v_fma_f32 v7, -v39, v32, v7
	ds_read_b128 v[29:32], v15 offset:144
	ds_read2_b64 v[37:40], v23 offset0:64 offset1:96
	s_waitcnt lgkmcnt(2)
	v_fma_f32 v6, -v25, v33, v6
	v_fma_f32 v7, -v26, v33, v7
	v_fmac_f32_e32 v6, v26, v34
	v_fma_f32 v7, -v25, v34, v7
	v_fma_f32 v6, -v27, v35, v6
	v_fma_f32 v7, -v28, v35, v7
	v_fmac_f32_e32 v6, v28, v36
	v_fma_f32 v7, -v27, v36, v7
	ds_read2_b64 v[25:28], v23 offset0:128 offset1:160
	ds_read_b128 v[33:36], v15 offset:160
	s_waitcnt lgkmcnt(2)
	v_fma_f32 v6, -v37, v29, v6
	v_fma_f32 v7, -v38, v29, v7
	v_fmac_f32_e32 v6, v38, v30
	v_fma_f32 v7, -v37, v30, v7
	v_fma_f32 v6, -v39, v31, v6
	v_fma_f32 v7, -v40, v31, v7
	v_fmac_f32_e32 v6, v40, v32
	v_fma_f32 v7, -v39, v32, v7
	ds_read_b128 v[29:32], v15 offset:176
	ds_read2_b64 v[37:40], v23 offset0:192 offset1:224
	s_waitcnt lgkmcnt(2)
	v_fma_f32 v6, -v25, v33, v6
	v_fma_f32 v7, -v26, v33, v7
	v_fmac_f32_e32 v6, v26, v34
	v_fma_f32 v7, -v25, v34, v7
	v_fma_f32 v6, -v27, v35, v6
	v_fma_f32 v7, -v28, v35, v7
	v_fmac_f32_e32 v6, v28, v36
	v_fma_f32 v7, -v27, v36, v7
	;; [unrolled: 44-line block ×3, first 2 shown]
	s_waitcnt lgkmcnt(0)
	v_fma_f32 v6, -v37, v29, v6
	v_fma_f32 v7, -v38, v29, v7
	v_fmac_f32_e32 v6, v38, v30
	v_fma_f32 v8, -v37, v30, v7
	v_fma_f32 v7, -v39, v31, v6
	;; [unrolled: 1-line block ×3, first 2 shown]
	v_fmac_f32_e32 v7, v40, v32
	v_fma_f32 v8, -v39, v32, v6
	s_branch .LBB59_9
.LBB59_31:
	s_or_b64 exec, exec, s[24:25]
.LBB59_32:
	s_or_b64 exec, exec, s[22:23]
	s_cmp_gt_i32 s33, 0
	v_cmp_eq_u32_e32 vcc, v9, v1
	s_cselect_b64 s[2:3], -1, 0
	s_and_b64 s[4:5], s[2:3], vcc
	s_mov_b64 s[2:3], 0
	s_and_saveexec_b64 s[6:7], s[4:5]
	s_cbranch_execnz .LBB59_36
; %bb.33:
	s_or_b64 exec, exec, s[6:7]
	s_and_saveexec_b64 s[4:5], s[0:1]
	s_cbranch_execnz .LBB59_50
.LBB59_34:
	s_or_b64 exec, exec, s[4:5]
	v_cmp_eq_u32_e32 vcc, 0, v4
	s_and_b64 exec, exec, vcc
	s_cbranch_execnz .LBB59_51
.LBB59_35:
	s_endpgm
.LBB59_36:
	v_lshl_add_u32 v5, s33, 8, v12
	s_movk_i32 s4, 0xff00
	s_cmp_eq_u32 s9, 0
	v_add3_u32 v9, v5, v13, s4
	s_mul_i32 s4, s33, 0x108
	s_cselect_b64 s[2:3], -1, 0
	v_mbcnt_lo_u32_b32 v0, -1, 0
	v_add_u32_e32 v5, s4, v12
	v_mbcnt_hi_u32_b32 v0, -1, v0
	v_add_u32_e32 v10, 0xfffffef8, v5
	v_cndmask_b32_e64 v5, 0, 1, s[2:3]
	v_and_b32_e32 v0, 64, v0
	s_add_i32 s9, s33, -1
	s_mov_b64 s[16:17], 0
	v_cmp_ne_u32_e64 s[2:3], 1, v5
                                        ; implicit-def: $sgpr10_sgpr11
	s_and_b64 vcc, exec, s[2:3]
	s_cbranch_vccz .LBB59_38
.LBB59_37:
	v_mov_b32_e32 v5, 1.0
	v_mov_b32_e32 v6, 0
	s_branch .LBB59_39
.LBB59_38:
	ds_read_b64 v[5:6], v10
.LBB59_39:
	v_and_or_b32 v11, s9, 63, v0
	v_lshlrev_b32_e32 v11, 2, v11
	ds_bpermute_b32 v12, v11, v7
	ds_bpermute_b32 v11, v11, v8
	s_waitcnt lgkmcnt(0)
	v_cmp_neq_f32_e32 vcc, 0, v5
	v_cmp_neq_f32_e64 s[4:5], 0, v6
	s_or_b64 s[18:19], vcc, s[4:5]
	s_or_b64 s[10:11], s[10:11], exec
	s_and_saveexec_b64 s[4:5], s[18:19]
	s_cbranch_execz .LBB59_41
; %bb.40:
	v_mul_f32_e32 v13, v6, v6
	v_fmac_f32_e32 v13, v5, v5
	v_div_scale_f32 v14, s[18:19], v13, v13, 1.0
	v_div_scale_f32 v15, vcc, 1.0, v13, 1.0
	s_andn2_b64 s[10:11], s[10:11], exec
	s_and_b64 s[16:17], s[16:17], exec
	s_or_b64 s[10:11], s[10:11], s[16:17]
	v_rcp_f32_e32 v16, v14
	v_fma_f32 v17, -v14, v16, 1.0
	v_fmac_f32_e32 v16, v17, v16
	v_mul_f32_e32 v17, v15, v16
	v_fma_f32 v18, -v14, v17, v15
	v_fmac_f32_e32 v17, v18, v16
	v_fma_f32 v14, -v14, v17, v15
	v_div_fmas_f32 v14, v14, v16, v17
	v_mul_f32_e32 v15, v6, v11
	v_mul_f32_e64 v6, v6, -v12
	v_fmac_f32_e32 v15, v12, v5
	v_fmac_f32_e32 v6, v11, v5
	v_div_fixup_f32 v5, v14, v13, 1.0
	v_mul_f32_e32 v12, v5, v15
	v_mul_f32_e32 v11, v5, v6
.LBB59_41:
	s_or_b64 exec, exec, s[4:5]
	s_and_saveexec_b64 s[4:5], s[0:1]
	s_cbranch_execz .LBB59_47
; %bb.42:
	v_cmp_le_i32_e32 vcc, s9, v4
	s_and_saveexec_b64 s[16:17], vcc
	s_xor_b64 s[16:17], exec, s[16:17]
; %bb.43:
	v_cmp_eq_u32_e32 vcc, s9, v4
	v_cndmask_b32_e32 v7, v7, v12, vcc
	v_cndmask_b32_e32 v8, v8, v11, vcc
                                        ; implicit-def: $vgpr12
                                        ; implicit-def: $vgpr11
; %bb.44:
	s_andn2_saveexec_b64 s[16:17], s[16:17]
	s_cbranch_execz .LBB59_46
; %bb.45:
	ds_read_b64 v[5:6], v9
	s_waitcnt lgkmcnt(0)
	v_fma_f32 v7, -v12, v5, v7
	v_fma_f32 v5, -v11, v5, v8
	v_fmac_f32_e32 v7, v11, v6
	v_fma_f32 v8, -v12, v6, v5
.LBB59_46:
	s_or_b64 exec, exec, s[16:17]
.LBB59_47:
	s_or_b64 exec, exec, s[4:5]
	s_add_i32 s4, s9, -1
	s_add_i32 s5, s9, 1
	v_add_u32_e32 v9, 0xffffff00, v9
	s_cmp_gt_u32 s5, 1
	v_add_u32_e32 v10, 0xfffffef8, v10
	s_cbranch_scc0 .LBB59_49
; %bb.48:
	s_mov_b64 s[16:17], s[10:11]
	s_mov_b32 s9, s4
	s_and_b64 vcc, exec, s[2:3]
	s_cbranch_vccnz .LBB59_37
	s_branch .LBB59_38
.LBB59_49:
	s_and_b64 s[2:3], s[10:11], exec
	s_or_b64 exec, exec, s[6:7]
	s_and_saveexec_b64 s[4:5], s[0:1]
	s_cbranch_execz .LBB59_34
.LBB59_50:
	v_mad_u64_u32 v[5:6], s[0:1], v1, s33, v[4:5]
	v_mov_b32_e32 v0, s13
	v_ashrrev_i32_e32 v6, 31, v5
	v_lshlrev_b64 v[5:6], 3, v[5:6]
	v_add_co_u32_e32 v5, vcc, s12, v5
	v_addc_co_u32_e32 v6, vcc, v0, v6, vcc
	global_store_dwordx2 v[5:6], v[7:8], off
	s_or_b64 exec, exec, s[4:5]
	v_cmp_eq_u32_e32 vcc, 0, v4
	s_and_b64 exec, exec, vcc
	s_cbranch_execz .LBB59_35
.LBB59_51:
	v_mov_b32_e32 v0, s15
	v_add_co_u32_e32 v2, vcc, s14, v2
	v_addc_co_u32_e32 v3, vcc, v0, v3, vcc
	v_mov_b32_e32 v0, 1
	s_waitcnt vmcnt(0) lgkmcnt(0)
	global_store_dword v[2:3], v0, off
	s_and_b64 exec, exec, s[2:3]
	s_cbranch_execz .LBB59_35
; %bb.52:
	s_mov_b64 s[0:1], exec
	v_add_u32_e32 v0, s8, v1
	s_brev_b32 s2, -2
.LBB59_53:                              ; =>This Inner Loop Header: Depth=1
	s_ff1_i32_b64 s3, s[0:1]
	v_readlane_b32 s6, v0, s3
	s_lshl_b64 s[4:5], 1, s3
	s_min_i32 s2, s2, s6
	s_andn2_b64 s[0:1], s[0:1], s[4:5]
	s_cmp_lg_u64 s[0:1], 0
	s_cbranch_scc1 .LBB59_53
; %bb.54:
	v_mbcnt_lo_u32_b32 v0, exec_lo, 0
	v_mbcnt_hi_u32_b32 v0, exec_hi, v0
	v_cmp_eq_u32_e32 vcc, 0, v0
	s_and_saveexec_b64 s[0:1], vcc
	s_xor_b64 s[0:1], exec, s[0:1]
	s_cbranch_execz .LBB59_35
; %bb.55:
	v_mov_b32_e32 v0, 0
	v_mov_b32_e32 v1, s2
	global_atomic_smin v0, v1, s[20:21]
	s_endpgm
	.section	.rodata,"a",@progbits
	.p2align	6, 0x0
	.amdhsa_kernel _ZN9rocsparseL18bsrsv_upper_sharedILj128ELj64ELi32ELb1E21rocsparse_complex_numIfEEEviNS_24const_host_device_scalarIT3_EEPKiS7_PKS4_iS9_PS4_PiSB_SB_21rocsparse_index_base_20rocsparse_diag_type_20rocsparse_direction_b
		.amdhsa_group_segment_fixed_size 16896
		.amdhsa_private_segment_fixed_size 0
		.amdhsa_kernarg_size 104
		.amdhsa_user_sgpr_count 6
		.amdhsa_user_sgpr_private_segment_buffer 1
		.amdhsa_user_sgpr_dispatch_ptr 0
		.amdhsa_user_sgpr_queue_ptr 0
		.amdhsa_user_sgpr_kernarg_segment_ptr 1
		.amdhsa_user_sgpr_dispatch_id 0
		.amdhsa_user_sgpr_flat_scratch_init 0
		.amdhsa_user_sgpr_private_segment_size 0
		.amdhsa_uses_dynamic_stack 0
		.amdhsa_system_sgpr_private_segment_wavefront_offset 0
		.amdhsa_system_sgpr_workgroup_id_x 1
		.amdhsa_system_sgpr_workgroup_id_y 0
		.amdhsa_system_sgpr_workgroup_id_z 0
		.amdhsa_system_sgpr_workgroup_info 0
		.amdhsa_system_vgpr_workitem_id 0
		.amdhsa_next_free_vgpr 85
		.amdhsa_next_free_sgpr 98
		.amdhsa_reserve_vcc 1
		.amdhsa_reserve_flat_scratch 0
		.amdhsa_float_round_mode_32 0
		.amdhsa_float_round_mode_16_64 0
		.amdhsa_float_denorm_mode_32 3
		.amdhsa_float_denorm_mode_16_64 3
		.amdhsa_dx10_clamp 1
		.amdhsa_ieee_mode 1
		.amdhsa_fp16_overflow 0
		.amdhsa_exception_fp_ieee_invalid_op 0
		.amdhsa_exception_fp_denorm_src 0
		.amdhsa_exception_fp_ieee_div_zero 0
		.amdhsa_exception_fp_ieee_overflow 0
		.amdhsa_exception_fp_ieee_underflow 0
		.amdhsa_exception_fp_ieee_inexact 0
		.amdhsa_exception_int_div_zero 0
	.end_amdhsa_kernel
	.section	.text._ZN9rocsparseL18bsrsv_upper_sharedILj128ELj64ELi32ELb1E21rocsparse_complex_numIfEEEviNS_24const_host_device_scalarIT3_EEPKiS7_PKS4_iS9_PS4_PiSB_SB_21rocsparse_index_base_20rocsparse_diag_type_20rocsparse_direction_b,"axG",@progbits,_ZN9rocsparseL18bsrsv_upper_sharedILj128ELj64ELi32ELb1E21rocsparse_complex_numIfEEEviNS_24const_host_device_scalarIT3_EEPKiS7_PKS4_iS9_PS4_PiSB_SB_21rocsparse_index_base_20rocsparse_diag_type_20rocsparse_direction_b,comdat
.Lfunc_end59:
	.size	_ZN9rocsparseL18bsrsv_upper_sharedILj128ELj64ELi32ELb1E21rocsparse_complex_numIfEEEviNS_24const_host_device_scalarIT3_EEPKiS7_PKS4_iS9_PS4_PiSB_SB_21rocsparse_index_base_20rocsparse_diag_type_20rocsparse_direction_b, .Lfunc_end59-_ZN9rocsparseL18bsrsv_upper_sharedILj128ELj64ELi32ELb1E21rocsparse_complex_numIfEEEviNS_24const_host_device_scalarIT3_EEPKiS7_PKS4_iS9_PS4_PiSB_SB_21rocsparse_index_base_20rocsparse_diag_type_20rocsparse_direction_b
                                        ; -- End function
	.set _ZN9rocsparseL18bsrsv_upper_sharedILj128ELj64ELi32ELb1E21rocsparse_complex_numIfEEEviNS_24const_host_device_scalarIT3_EEPKiS7_PKS4_iS9_PS4_PiSB_SB_21rocsparse_index_base_20rocsparse_diag_type_20rocsparse_direction_b.num_vgpr, 49
	.set _ZN9rocsparseL18bsrsv_upper_sharedILj128ELj64ELi32ELb1E21rocsparse_complex_numIfEEEviNS_24const_host_device_scalarIT3_EEPKiS7_PKS4_iS9_PS4_PiSB_SB_21rocsparse_index_base_20rocsparse_diag_type_20rocsparse_direction_b.num_agpr, 0
	.set _ZN9rocsparseL18bsrsv_upper_sharedILj128ELj64ELi32ELb1E21rocsparse_complex_numIfEEEviNS_24const_host_device_scalarIT3_EEPKiS7_PKS4_iS9_PS4_PiSB_SB_21rocsparse_index_base_20rocsparse_diag_type_20rocsparse_direction_b.numbered_sgpr, 35
	.set _ZN9rocsparseL18bsrsv_upper_sharedILj128ELj64ELi32ELb1E21rocsparse_complex_numIfEEEviNS_24const_host_device_scalarIT3_EEPKiS7_PKS4_iS9_PS4_PiSB_SB_21rocsparse_index_base_20rocsparse_diag_type_20rocsparse_direction_b.num_named_barrier, 0
	.set _ZN9rocsparseL18bsrsv_upper_sharedILj128ELj64ELi32ELb1E21rocsparse_complex_numIfEEEviNS_24const_host_device_scalarIT3_EEPKiS7_PKS4_iS9_PS4_PiSB_SB_21rocsparse_index_base_20rocsparse_diag_type_20rocsparse_direction_b.private_seg_size, 0
	.set _ZN9rocsparseL18bsrsv_upper_sharedILj128ELj64ELi32ELb1E21rocsparse_complex_numIfEEEviNS_24const_host_device_scalarIT3_EEPKiS7_PKS4_iS9_PS4_PiSB_SB_21rocsparse_index_base_20rocsparse_diag_type_20rocsparse_direction_b.uses_vcc, 1
	.set _ZN9rocsparseL18bsrsv_upper_sharedILj128ELj64ELi32ELb1E21rocsparse_complex_numIfEEEviNS_24const_host_device_scalarIT3_EEPKiS7_PKS4_iS9_PS4_PiSB_SB_21rocsparse_index_base_20rocsparse_diag_type_20rocsparse_direction_b.uses_flat_scratch, 0
	.set _ZN9rocsparseL18bsrsv_upper_sharedILj128ELj64ELi32ELb1E21rocsparse_complex_numIfEEEviNS_24const_host_device_scalarIT3_EEPKiS7_PKS4_iS9_PS4_PiSB_SB_21rocsparse_index_base_20rocsparse_diag_type_20rocsparse_direction_b.has_dyn_sized_stack, 0
	.set _ZN9rocsparseL18bsrsv_upper_sharedILj128ELj64ELi32ELb1E21rocsparse_complex_numIfEEEviNS_24const_host_device_scalarIT3_EEPKiS7_PKS4_iS9_PS4_PiSB_SB_21rocsparse_index_base_20rocsparse_diag_type_20rocsparse_direction_b.has_recursion, 0
	.set _ZN9rocsparseL18bsrsv_upper_sharedILj128ELj64ELi32ELb1E21rocsparse_complex_numIfEEEviNS_24const_host_device_scalarIT3_EEPKiS7_PKS4_iS9_PS4_PiSB_SB_21rocsparse_index_base_20rocsparse_diag_type_20rocsparse_direction_b.has_indirect_call, 0
	.section	.AMDGPU.csdata,"",@progbits
; Kernel info:
; codeLenInByte = 2972
; TotalNumSgprs: 39
; NumVgprs: 49
; ScratchSize: 0
; MemoryBound: 0
; FloatMode: 240
; IeeeMode: 1
; LDSByteSize: 16896 bytes/workgroup (compile time only)
; SGPRBlocks: 12
; VGPRBlocks: 21
; NumSGPRsForWavesPerEU: 102
; NumVGPRsForWavesPerEU: 85
; Occupancy: 2
; WaveLimiterHint : 1
; COMPUTE_PGM_RSRC2:SCRATCH_EN: 0
; COMPUTE_PGM_RSRC2:USER_SGPR: 6
; COMPUTE_PGM_RSRC2:TRAP_HANDLER: 0
; COMPUTE_PGM_RSRC2:TGID_X_EN: 1
; COMPUTE_PGM_RSRC2:TGID_Y_EN: 0
; COMPUTE_PGM_RSRC2:TGID_Z_EN: 0
; COMPUTE_PGM_RSRC2:TIDIG_COMP_CNT: 0
	.section	.text._ZN9rocsparseL18bsrsv_upper_sharedILj128ELj64ELi32ELb0E21rocsparse_complex_numIfEEEviNS_24const_host_device_scalarIT3_EEPKiS7_PKS4_iS9_PS4_PiSB_SB_21rocsparse_index_base_20rocsparse_diag_type_20rocsparse_direction_b,"axG",@progbits,_ZN9rocsparseL18bsrsv_upper_sharedILj128ELj64ELi32ELb0E21rocsparse_complex_numIfEEEviNS_24const_host_device_scalarIT3_EEPKiS7_PKS4_iS9_PS4_PiSB_SB_21rocsparse_index_base_20rocsparse_diag_type_20rocsparse_direction_b,comdat
	.globl	_ZN9rocsparseL18bsrsv_upper_sharedILj128ELj64ELi32ELb0E21rocsparse_complex_numIfEEEviNS_24const_host_device_scalarIT3_EEPKiS7_PKS4_iS9_PS4_PiSB_SB_21rocsparse_index_base_20rocsparse_diag_type_20rocsparse_direction_b ; -- Begin function _ZN9rocsparseL18bsrsv_upper_sharedILj128ELj64ELi32ELb0E21rocsparse_complex_numIfEEEviNS_24const_host_device_scalarIT3_EEPKiS7_PKS4_iS9_PS4_PiSB_SB_21rocsparse_index_base_20rocsparse_diag_type_20rocsparse_direction_b
	.p2align	8
	.type	_ZN9rocsparseL18bsrsv_upper_sharedILj128ELj64ELi32ELb0E21rocsparse_complex_numIfEEEviNS_24const_host_device_scalarIT3_EEPKiS7_PKS4_iS9_PS4_PiSB_SB_21rocsparse_index_base_20rocsparse_diag_type_20rocsparse_direction_b,@function
_ZN9rocsparseL18bsrsv_upper_sharedILj128ELj64ELi32ELb0E21rocsparse_complex_numIfEEEviNS_24const_host_device_scalarIT3_EEPKiS7_PKS4_iS9_PS4_PiSB_SB_21rocsparse_index_base_20rocsparse_diag_type_20rocsparse_direction_b: ; @_ZN9rocsparseL18bsrsv_upper_sharedILj128ELj64ELi32ELb0E21rocsparse_complex_numIfEEEviNS_24const_host_device_scalarIT3_EEPKiS7_PKS4_iS9_PS4_PiSB_SB_21rocsparse_index_base_20rocsparse_diag_type_20rocsparse_direction_b
; %bb.0:
	s_load_dwordx4 s[8:11], s[4:5], 0x58
	s_load_dwordx2 s[2:3], s[4:5], 0x8
	s_waitcnt lgkmcnt(0)
	s_bitcmp1_b32 s11, 0
	s_cselect_b64 s[12:13], -1, 0
	s_xor_b64 s[0:1], s[12:13], -1
	s_and_b64 vcc, exec, s[12:13]
	s_mov_b32 s11, s2
	s_cbranch_vccnz .LBB60_2
; %bb.1:
	s_load_dword s11, s[2:3], 0x0
.LBB60_2:
	s_andn2_b64 vcc, exec, s[0:1]
	s_cbranch_vccnz .LBB60_4
; %bb.3:
	s_load_dword s3, s[2:3], 0x4
.LBB60_4:
	s_nop 0
	s_load_dword s2, s[4:5], 0x0
	s_lshl_b32 s0, s6, 1
	v_lshrrev_b32_e32 v11, 6, v0
	s_and_b32 s0, s0, 0x3fffffe
	v_or_b32_e32 v1, s0, v11
	s_waitcnt lgkmcnt(0)
	v_cmp_gt_i32_e32 vcc, s2, v1
	s_and_saveexec_b64 s[0:1], vcc
	s_cbranch_execz .LBB60_33
; %bb.5:
	s_load_dwordx2 s[0:1], s[4:5], 0x48
	s_load_dwordx4 s[12:15], s[4:5], 0x38
	v_lshlrev_b32_e32 v1, 2, v1
	v_mov_b32_e32 v9, 0
	v_mov_b32_e32 v10, 0
	s_waitcnt lgkmcnt(0)
	global_load_dword v1, v1, s[0:1]
	s_load_dwordx2 s[0:1], s[4:5], 0x10
	s_load_dword s33, s[4:5], 0x28
	s_waitcnt lgkmcnt(0)
	v_mov_b32_e32 v5, s1
	s_waitcnt vmcnt(0)
	v_ashrrev_i32_e32 v2, 31, v1
	v_lshlrev_b64 v[2:3], 2, v[1:2]
	v_add_co_u32_e32 v4, vcc, s0, v2
	v_addc_co_u32_e32 v5, vcc, v5, v3, vcc
	global_load_dwordx2 v[5:6], v[4:5], off
	v_and_b32_e32 v4, 63, v0
	v_cmp_gt_i32_e64 s[0:1], s33, v4
	s_and_saveexec_b64 s[6:7], s[0:1]
	s_cbranch_execz .LBB60_7
; %bb.6:
	s_waitcnt vmcnt(0)
	v_mad_u64_u32 v[7:8], s[16:17], v1, s33, v[4:5]
	s_load_dwordx2 s[16:17], s[4:5], 0x30
	v_ashrrev_i32_e32 v8, 31, v7
	v_lshlrev_b64 v[7:8], 3, v[7:8]
	s_waitcnt lgkmcnt(0)
	v_mov_b32_e32 v9, s17
	v_add_co_u32_e32 v7, vcc, s16, v7
	v_addc_co_u32_e32 v8, vcc, v9, v8, vcc
	global_load_dwordx2 v[9:10], v[7:8], off
.LBB60_7:
	s_or_b64 exec, exec, s[6:7]
	s_load_dwordx2 s[20:21], s[4:5], 0x50
	s_waitcnt vmcnt(0)
	v_subrev_u32_e32 v14, s8, v5
	v_mul_f32_e64 v7, v10, -s3
	v_mul_f32_e32 v8, s11, v10
	v_xad_u32 v5, s8, -1, v6
	v_fmac_f32_e32 v7, s11, v9
	v_fmac_f32_e32 v8, s3, v9
	v_lshlrev_b32_e32 v12, 13, v11
	v_cmp_ge_i32_e32 vcc, v5, v14
	v_mov_b32_e32 v9, s2
	v_lshlrev_b32_e32 v13, 3, v4
	s_and_saveexec_b64 s[22:23], vcc
	s_cbranch_execz .LBB60_30
; %bb.8:
	v_and_b32_e32 v0, 31, v0
	s_load_dwordx4 s[16:19], s[4:5], 0x18
	v_mad_u64_u32 v[9:10], s[4:5], s33, v5, v[0:1]
	v_mov_b32_e32 v6, 0x4000
	v_lshrrev_b32_e32 v16, 5, v4
	v_mul_lo_u32 v19, s33, v9
	v_lshl_or_b32 v15, v11, 8, v6
	s_cmp_lg_u32 s10, 0
	v_add_u32_e32 v18, v12, v13
	v_lshlrev_b32_e32 v6, 8, v16
	v_lshlrev_b32_e32 v9, 3, v0
	v_cmp_gt_i32_e64 s[2:3], s33, v0
	s_cselect_b64 s[10:11], -1, 0
	v_cmp_gt_u32_e64 s[4:5], 32, v4
	v_add_u32_e32 v17, v15, v13
	s_mul_i32 s34, s33, s33
	v_add3_u32 v20, v12, v6, v9
	s_mov_b64 s[24:25], 0
	s_waitcnt lgkmcnt(0)
	v_mov_b32_e32 v21, s17
	v_add_u32_e32 v22, 0x800, v18
	v_add_u32_e32 v23, 0x1000, v18
	;; [unrolled: 1-line block ×3, first 2 shown]
	s_branch .LBB60_11
.LBB60_9:                               ;   in Loop: Header=BB60_11 Depth=1
	s_or_b64 exec, exec, s[6:7]
.LBB60_10:                              ;   in Loop: Header=BB60_11 Depth=1
	s_or_b64 exec, exec, s[26:27]
	v_cmp_le_i32_e64 s[6:7], v5, v14
	s_xor_b64 s[26:27], vcc, -1
	s_or_b64 s[6:7], s[26:27], s[6:7]
	v_add_u32_e32 v6, -1, v5
	s_and_b64 s[6:7], exec, s[6:7]
	v_subrev_u32_e32 v19, s34, v19
	s_or_b64 s[24:25], s[6:7], s[24:25]
	v_mov_b32_e32 v5, v6
	s_andn2_b64 exec, exec, s[24:25]
	s_cbranch_execz .LBB60_29
.LBB60_11:                              ; =>This Loop Header: Depth=1
                                        ;     Child Loop BB60_14 Depth 2
                                        ;     Child Loop BB60_22 Depth 2
	v_ashrrev_i32_e32 v6, 31, v5
	v_lshlrev_b64 v[9:10], 2, v[5:6]
	v_mul_lo_u32 v11, v5, s33
	v_add_co_u32_e32 v9, vcc, s16, v9
	v_addc_co_u32_e32 v10, vcc, v21, v10, vcc
	global_load_dword v6, v[9:10], off
	s_mov_b64 s[6:7], 0
	v_mov_b32_e32 v25, v20
	v_mov_b32_e32 v26, v16
	s_branch .LBB60_14
.LBB60_12:                              ;   in Loop: Header=BB60_14 Depth=2
	v_ashrrev_i32_e32 v10, 31, v9
	v_lshlrev_b64 v[9:10], 3, v[9:10]
	v_mov_b32_e32 v27, s19
	v_add_co_u32_e32 v9, vcc, s18, v9
	v_addc_co_u32_e32 v10, vcc, v27, v10, vcc
	global_load_dwordx2 v[9:10], v[9:10], off
.LBB60_13:                              ;   in Loop: Header=BB60_14 Depth=2
	s_or_b64 exec, exec, s[26:27]
	s_waitcnt vmcnt(0)
	ds_write_b64 v25, v[9:10]
	v_add_u32_e32 v9, 2, v26
	v_cmp_lt_u32_e32 vcc, 29, v26
	v_add_u32_e32 v25, 0x200, v25
	s_or_b64 s[6:7], vcc, s[6:7]
	v_mov_b32_e32 v26, v9
	s_andn2_b64 exec, exec, s[6:7]
	s_cbranch_execz .LBB60_19
.LBB60_14:                              ;   Parent Loop BB60_11 Depth=1
                                        ; =>  This Inner Loop Header: Depth=2
	v_cmp_gt_i32_e32 vcc, s33, v26
	s_and_b64 s[28:29], s[2:3], vcc
	v_mov_b32_e32 v9, 0
	v_mov_b32_e32 v10, 0
	s_and_saveexec_b64 s[26:27], s[28:29]
	s_cbranch_execz .LBB60_13
; %bb.15:                               ;   in Loop: Header=BB60_14 Depth=2
	s_and_b64 vcc, exec, s[10:11]
	s_cbranch_vccz .LBB60_17
; %bb.16:                               ;   in Loop: Header=BB60_14 Depth=2
	v_add_u32_e32 v9, v26, v11
	v_mad_u64_u32 v[9:10], s[28:29], v9, s33, v[0:1]
	s_cbranch_execnz .LBB60_12
	s_branch .LBB60_18
.LBB60_17:                              ;   in Loop: Header=BB60_14 Depth=2
                                        ; implicit-def: $vgpr9
.LBB60_18:                              ;   in Loop: Header=BB60_14 Depth=2
	v_add_u32_e32 v9, v19, v26
	s_branch .LBB60_12
.LBB60_19:                              ;   in Loop: Header=BB60_11 Depth=1
	s_or_b64 exec, exec, s[6:7]
	v_subrev_u32_e32 v9, s8, v6
	v_cmp_gt_i32_e32 vcc, v9, v1
	s_and_saveexec_b64 s[26:27], vcc
	s_cbranch_execz .LBB60_10
; %bb.20:                               ;   in Loop: Header=BB60_11 Depth=1
	v_ashrrev_i32_e32 v10, 31, v9
	v_lshlrev_b64 v[10:11], 2, v[9:10]
	v_mov_b32_e32 v6, s15
	v_add_co_u32_e64 v10, s[6:7], s14, v10
	v_addc_co_u32_e64 v11, s[6:7], v6, v11, s[6:7]
	global_load_dword v6, v[10:11], off glc
	s_waitcnt vmcnt(0)
	v_cmp_eq_u32_e64 s[6:7], 0, v6
	s_and_saveexec_b64 s[28:29], s[6:7]
	s_cbranch_execz .LBB60_23
; %bb.21:                               ;   in Loop: Header=BB60_11 Depth=1
	s_mov_b64 s[30:31], 0
.LBB60_22:                              ;   Parent Loop BB60_11 Depth=1
                                        ; =>  This Inner Loop Header: Depth=2
	global_load_dword v6, v[10:11], off glc
	s_waitcnt vmcnt(0)
	v_cmp_ne_u32_e64 s[6:7], 0, v6
	s_or_b64 s[30:31], s[6:7], s[30:31]
	s_andn2_b64 exec, exec, s[30:31]
	s_cbranch_execnz .LBB60_22
.LBB60_23:                              ;   in Loop: Header=BB60_11 Depth=1
	s_or_b64 exec, exec, s[28:29]
	s_waitcnt lgkmcnt(0)
	buffer_wbinvl1_vol
	s_and_saveexec_b64 s[28:29], s[4:5]
	s_cbranch_execz .LBB60_27
; %bb.24:                               ;   in Loop: Header=BB60_11 Depth=1
	v_mov_b32_e32 v11, 0
	v_mov_b32_e32 v10, 0
	s_and_saveexec_b64 s[30:31], s[0:1]
	s_cbranch_execz .LBB60_26
; %bb.25:                               ;   in Loop: Header=BB60_11 Depth=1
	v_mad_u64_u32 v[10:11], s[6:7], v9, s33, v[4:5]
	v_mov_b32_e32 v6, s13
	v_ashrrev_i32_e32 v11, 31, v10
	v_lshlrev_b64 v[10:11], 3, v[10:11]
	v_add_co_u32_e64 v10, s[6:7], s12, v10
	v_addc_co_u32_e64 v11, s[6:7], v6, v11, s[6:7]
	global_load_dwordx2 v[10:11], v[10:11], off
.LBB60_26:                              ;   in Loop: Header=BB60_11 Depth=1
	s_or_b64 exec, exec, s[30:31]
	s_waitcnt vmcnt(0)
	ds_write_b64 v17, v[10:11]
.LBB60_27:                              ;   in Loop: Header=BB60_11 Depth=1
	s_or_b64 exec, exec, s[28:29]
	s_waitcnt lgkmcnt(0)
	s_and_saveexec_b64 s[6:7], s[0:1]
	s_cbranch_execz .LBB60_9
; %bb.28:                               ;   in Loop: Header=BB60_11 Depth=1
	ds_read2_b64 v[25:28], v18 offset1:32
	ds_read_b128 v[29:32], v15
	ds_read_b128 v[33:36], v15 offset:16
	ds_read_b128 v[37:40], v15 offset:32
	;; [unrolled: 1-line block ×3, first 2 shown]
	ds_read2_b64 v[45:48], v18 offset0:64 offset1:96
	s_waitcnt lgkmcnt(4)
	v_fma_f32 v6, -v25, v29, v7
	v_fma_f32 v7, -v26, v29, v8
	v_fmac_f32_e32 v6, v26, v30
	v_fma_f32 v7, -v25, v30, v7
	v_fma_f32 v6, -v27, v31, v6
	v_fma_f32 v7, -v28, v31, v7
	v_fmac_f32_e32 v6, v28, v32
	v_fma_f32 v7, -v27, v32, v7
	ds_read2_b64 v[25:28], v18 offset0:128 offset1:160
	s_waitcnt lgkmcnt(1)
	v_fma_f32 v6, -v45, v33, v6
	v_fma_f32 v7, -v46, v33, v7
	v_fmac_f32_e32 v6, v46, v34
	v_fma_f32 v7, -v45, v34, v7
	v_fma_f32 v6, -v47, v35, v6
	v_fma_f32 v7, -v48, v35, v7
	v_fmac_f32_e32 v6, v48, v36
	v_fma_f32 v7, -v47, v36, v7
	;; [unrolled: 10-line block ×3, first 2 shown]
	ds_read2_b64 v[25:28], v22 offset1:32
	ds_read_b128 v[33:36], v15 offset:64
	s_waitcnt lgkmcnt(2)
	v_fma_f32 v6, -v29, v41, v6
	v_fma_f32 v7, -v30, v41, v7
	v_fmac_f32_e32 v6, v30, v42
	v_fma_f32 v7, -v29, v42, v7
	v_fma_f32 v6, -v31, v43, v6
	v_fma_f32 v7, -v32, v43, v7
	v_fmac_f32_e32 v6, v32, v44
	v_fma_f32 v7, -v31, v44, v7
	ds_read_b128 v[29:32], v15 offset:80
	ds_read2_b64 v[37:40], v22 offset0:64 offset1:96
	s_waitcnt lgkmcnt(2)
	v_fma_f32 v6, -v25, v33, v6
	v_fma_f32 v7, -v26, v33, v7
	v_fmac_f32_e32 v6, v26, v34
	v_fma_f32 v7, -v25, v34, v7
	v_fma_f32 v6, -v27, v35, v6
	v_fma_f32 v7, -v28, v35, v7
	v_fmac_f32_e32 v6, v28, v36
	v_fma_f32 v7, -v27, v36, v7
	ds_read2_b64 v[25:28], v22 offset0:128 offset1:160
	ds_read_b128 v[33:36], v15 offset:96
	s_waitcnt lgkmcnt(2)
	v_fma_f32 v6, -v37, v29, v6
	v_fma_f32 v7, -v38, v29, v7
	v_fmac_f32_e32 v6, v38, v30
	v_fma_f32 v7, -v37, v30, v7
	v_fma_f32 v6, -v39, v31, v6
	v_fma_f32 v7, -v40, v31, v7
	v_fmac_f32_e32 v6, v40, v32
	v_fma_f32 v7, -v39, v32, v7
	ds_read_b128 v[29:32], v15 offset:112
	ds_read2_b64 v[37:40], v22 offset0:192 offset1:224
	s_waitcnt lgkmcnt(2)
	v_fma_f32 v6, -v25, v33, v6
	v_fma_f32 v7, -v26, v33, v7
	v_fmac_f32_e32 v6, v26, v34
	v_fma_f32 v7, -v25, v34, v7
	v_fma_f32 v6, -v27, v35, v6
	v_fma_f32 v7, -v28, v35, v7
	v_fmac_f32_e32 v6, v28, v36
	v_fma_f32 v7, -v27, v36, v7
	ds_read2_b64 v[25:28], v23 offset1:32
	ds_read_b128 v[33:36], v15 offset:128
	s_waitcnt lgkmcnt(2)
	v_fma_f32 v6, -v37, v29, v6
	v_fma_f32 v7, -v38, v29, v7
	v_fmac_f32_e32 v6, v38, v30
	v_fma_f32 v7, -v37, v30, v7
	v_fma_f32 v6, -v39, v31, v6
	v_fma_f32 v7, -v40, v31, v7
	v_fmac_f32_e32 v6, v40, v32
	v_fma_f32 v7, -v39, v32, v7
	ds_read_b128 v[29:32], v15 offset:144
	ds_read2_b64 v[37:40], v23 offset0:64 offset1:96
	s_waitcnt lgkmcnt(2)
	v_fma_f32 v6, -v25, v33, v6
	v_fma_f32 v7, -v26, v33, v7
	v_fmac_f32_e32 v6, v26, v34
	v_fma_f32 v7, -v25, v34, v7
	v_fma_f32 v6, -v27, v35, v6
	v_fma_f32 v7, -v28, v35, v7
	v_fmac_f32_e32 v6, v28, v36
	v_fma_f32 v7, -v27, v36, v7
	ds_read2_b64 v[25:28], v23 offset0:128 offset1:160
	ds_read_b128 v[33:36], v15 offset:160
	s_waitcnt lgkmcnt(2)
	v_fma_f32 v6, -v37, v29, v6
	v_fma_f32 v7, -v38, v29, v7
	v_fmac_f32_e32 v6, v38, v30
	v_fma_f32 v7, -v37, v30, v7
	v_fma_f32 v6, -v39, v31, v6
	v_fma_f32 v7, -v40, v31, v7
	v_fmac_f32_e32 v6, v40, v32
	v_fma_f32 v7, -v39, v32, v7
	ds_read_b128 v[29:32], v15 offset:176
	ds_read2_b64 v[37:40], v23 offset0:192 offset1:224
	s_waitcnt lgkmcnt(2)
	v_fma_f32 v6, -v25, v33, v6
	v_fma_f32 v7, -v26, v33, v7
	v_fmac_f32_e32 v6, v26, v34
	v_fma_f32 v7, -v25, v34, v7
	v_fma_f32 v6, -v27, v35, v6
	v_fma_f32 v7, -v28, v35, v7
	v_fmac_f32_e32 v6, v28, v36
	v_fma_f32 v7, -v27, v36, v7
	;; [unrolled: 44-line block ×3, first 2 shown]
	s_waitcnt lgkmcnt(0)
	v_fma_f32 v6, -v37, v29, v6
	v_fma_f32 v7, -v38, v29, v7
	v_fmac_f32_e32 v6, v38, v30
	v_fma_f32 v8, -v37, v30, v7
	v_fma_f32 v7, -v39, v31, v6
	;; [unrolled: 1-line block ×3, first 2 shown]
	v_fmac_f32_e32 v7, v40, v32
	v_fma_f32 v8, -v39, v32, v6
	s_branch .LBB60_9
.LBB60_29:
	s_or_b64 exec, exec, s[24:25]
.LBB60_30:
	s_or_b64 exec, exec, s[22:23]
	s_cmp_gt_i32 s33, 0
	v_cmp_eq_u32_e32 vcc, v9, v1
	s_cselect_b64 s[2:3], -1, 0
	s_and_b64 s[4:5], s[2:3], vcc
	s_mov_b64 s[2:3], 0
	s_and_saveexec_b64 s[6:7], s[4:5]
	s_cbranch_execnz .LBB60_34
; %bb.31:
	s_or_b64 exec, exec, s[6:7]
	s_and_saveexec_b64 s[4:5], s[0:1]
	s_cbranch_execnz .LBB60_48
.LBB60_32:
	s_or_b64 exec, exec, s[4:5]
	v_cmp_eq_u32_e32 vcc, 0, v4
	s_and_b64 exec, exec, vcc
	s_cbranch_execnz .LBB60_49
.LBB60_33:
	s_endpgm
.LBB60_34:
	v_lshl_add_u32 v5, s33, 8, v12
	s_movk_i32 s4, 0xff00
	s_cmp_eq_u32 s9, 0
	v_add3_u32 v9, v5, v13, s4
	s_mul_i32 s4, s33, 0x108
	s_cselect_b64 s[2:3], -1, 0
	v_mbcnt_lo_u32_b32 v0, -1, 0
	v_add_u32_e32 v5, s4, v12
	v_mbcnt_hi_u32_b32 v0, -1, v0
	v_add_u32_e32 v10, 0xfffffef8, v5
	v_cndmask_b32_e64 v5, 0, 1, s[2:3]
	v_and_b32_e32 v0, 64, v0
	s_add_i32 s9, s33, -1
	s_mov_b64 s[16:17], 0
	v_cmp_ne_u32_e64 s[2:3], 1, v5
                                        ; implicit-def: $sgpr10_sgpr11
	s_and_b64 vcc, exec, s[2:3]
	s_cbranch_vccz .LBB60_36
.LBB60_35:
	v_mov_b32_e32 v5, 1.0
	v_mov_b32_e32 v6, 0
	s_branch .LBB60_37
.LBB60_36:
	ds_read_b64 v[5:6], v10
.LBB60_37:
	v_and_or_b32 v11, s9, 63, v0
	v_lshlrev_b32_e32 v11, 2, v11
	ds_bpermute_b32 v12, v11, v7
	ds_bpermute_b32 v11, v11, v8
	s_waitcnt lgkmcnt(0)
	v_cmp_neq_f32_e32 vcc, 0, v5
	v_cmp_neq_f32_e64 s[4:5], 0, v6
	s_or_b64 s[18:19], vcc, s[4:5]
	s_or_b64 s[10:11], s[10:11], exec
	s_and_saveexec_b64 s[4:5], s[18:19]
	s_cbranch_execz .LBB60_39
; %bb.38:
	v_mul_f32_e32 v13, v6, v6
	v_fmac_f32_e32 v13, v5, v5
	v_div_scale_f32 v14, s[18:19], v13, v13, 1.0
	v_div_scale_f32 v15, vcc, 1.0, v13, 1.0
	s_andn2_b64 s[10:11], s[10:11], exec
	s_and_b64 s[16:17], s[16:17], exec
	s_or_b64 s[10:11], s[10:11], s[16:17]
	v_rcp_f32_e32 v16, v14
	v_fma_f32 v17, -v14, v16, 1.0
	v_fmac_f32_e32 v16, v17, v16
	v_mul_f32_e32 v17, v15, v16
	v_fma_f32 v18, -v14, v17, v15
	v_fmac_f32_e32 v17, v18, v16
	v_fma_f32 v14, -v14, v17, v15
	v_div_fmas_f32 v14, v14, v16, v17
	v_mul_f32_e32 v15, v6, v11
	v_mul_f32_e64 v6, v6, -v12
	v_fmac_f32_e32 v15, v12, v5
	v_fmac_f32_e32 v6, v11, v5
	v_div_fixup_f32 v5, v14, v13, 1.0
	v_mul_f32_e32 v12, v5, v15
	v_mul_f32_e32 v11, v5, v6
.LBB60_39:
	s_or_b64 exec, exec, s[4:5]
	s_and_saveexec_b64 s[4:5], s[0:1]
	s_cbranch_execz .LBB60_45
; %bb.40:
	v_cmp_le_i32_e32 vcc, s9, v4
	s_and_saveexec_b64 s[16:17], vcc
	s_xor_b64 s[16:17], exec, s[16:17]
; %bb.41:
	v_cmp_eq_u32_e32 vcc, s9, v4
	v_cndmask_b32_e32 v7, v7, v12, vcc
	v_cndmask_b32_e32 v8, v8, v11, vcc
                                        ; implicit-def: $vgpr12
                                        ; implicit-def: $vgpr11
; %bb.42:
	s_andn2_saveexec_b64 s[16:17], s[16:17]
	s_cbranch_execz .LBB60_44
; %bb.43:
	ds_read_b64 v[5:6], v9
	s_waitcnt lgkmcnt(0)
	v_fma_f32 v7, -v12, v5, v7
	v_fma_f32 v5, -v11, v5, v8
	v_fmac_f32_e32 v7, v11, v6
	v_fma_f32 v8, -v12, v6, v5
.LBB60_44:
	s_or_b64 exec, exec, s[16:17]
.LBB60_45:
	s_or_b64 exec, exec, s[4:5]
	s_add_i32 s4, s9, -1
	s_add_i32 s5, s9, 1
	v_add_u32_e32 v9, 0xffffff00, v9
	s_cmp_gt_u32 s5, 1
	v_add_u32_e32 v10, 0xfffffef8, v10
	s_cbranch_scc0 .LBB60_47
; %bb.46:
	s_mov_b64 s[16:17], s[10:11]
	s_mov_b32 s9, s4
	s_and_b64 vcc, exec, s[2:3]
	s_cbranch_vccnz .LBB60_35
	s_branch .LBB60_36
.LBB60_47:
	s_and_b64 s[2:3], s[10:11], exec
	s_or_b64 exec, exec, s[6:7]
	s_and_saveexec_b64 s[4:5], s[0:1]
	s_cbranch_execz .LBB60_32
.LBB60_48:
	v_mad_u64_u32 v[5:6], s[0:1], v1, s33, v[4:5]
	v_mov_b32_e32 v0, s13
	v_ashrrev_i32_e32 v6, 31, v5
	v_lshlrev_b64 v[5:6], 3, v[5:6]
	v_add_co_u32_e32 v5, vcc, s12, v5
	v_addc_co_u32_e32 v6, vcc, v0, v6, vcc
	global_store_dwordx2 v[5:6], v[7:8], off
	s_or_b64 exec, exec, s[4:5]
	v_cmp_eq_u32_e32 vcc, 0, v4
	s_and_b64 exec, exec, vcc
	s_cbranch_execz .LBB60_33
.LBB60_49:
	v_mov_b32_e32 v0, s15
	v_add_co_u32_e32 v2, vcc, s14, v2
	v_addc_co_u32_e32 v3, vcc, v0, v3, vcc
	v_mov_b32_e32 v0, 1
	s_waitcnt vmcnt(0) lgkmcnt(0)
	global_store_dword v[2:3], v0, off
	s_and_b64 exec, exec, s[2:3]
	s_cbranch_execz .LBB60_33
; %bb.50:
	s_mov_b64 s[0:1], exec
	v_add_u32_e32 v0, s8, v1
	s_brev_b32 s2, -2
.LBB60_51:                              ; =>This Inner Loop Header: Depth=1
	s_ff1_i32_b64 s3, s[0:1]
	v_readlane_b32 s6, v0, s3
	s_lshl_b64 s[4:5], 1, s3
	s_min_i32 s2, s2, s6
	s_andn2_b64 s[0:1], s[0:1], s[4:5]
	s_cmp_lg_u64 s[0:1], 0
	s_cbranch_scc1 .LBB60_51
; %bb.52:
	v_mbcnt_lo_u32_b32 v0, exec_lo, 0
	v_mbcnt_hi_u32_b32 v0, exec_hi, v0
	v_cmp_eq_u32_e32 vcc, 0, v0
	s_and_saveexec_b64 s[0:1], vcc
	s_xor_b64 s[0:1], exec, s[0:1]
	s_cbranch_execz .LBB60_33
; %bb.53:
	v_mov_b32_e32 v0, 0
	v_mov_b32_e32 v1, s2
	global_atomic_smin v0, v1, s[20:21]
	s_endpgm
	.section	.rodata,"a",@progbits
	.p2align	6, 0x0
	.amdhsa_kernel _ZN9rocsparseL18bsrsv_upper_sharedILj128ELj64ELi32ELb0E21rocsparse_complex_numIfEEEviNS_24const_host_device_scalarIT3_EEPKiS7_PKS4_iS9_PS4_PiSB_SB_21rocsparse_index_base_20rocsparse_diag_type_20rocsparse_direction_b
		.amdhsa_group_segment_fixed_size 16896
		.amdhsa_private_segment_fixed_size 0
		.amdhsa_kernarg_size 104
		.amdhsa_user_sgpr_count 6
		.amdhsa_user_sgpr_private_segment_buffer 1
		.amdhsa_user_sgpr_dispatch_ptr 0
		.amdhsa_user_sgpr_queue_ptr 0
		.amdhsa_user_sgpr_kernarg_segment_ptr 1
		.amdhsa_user_sgpr_dispatch_id 0
		.amdhsa_user_sgpr_flat_scratch_init 0
		.amdhsa_user_sgpr_private_segment_size 0
		.amdhsa_uses_dynamic_stack 0
		.amdhsa_system_sgpr_private_segment_wavefront_offset 0
		.amdhsa_system_sgpr_workgroup_id_x 1
		.amdhsa_system_sgpr_workgroup_id_y 0
		.amdhsa_system_sgpr_workgroup_id_z 0
		.amdhsa_system_sgpr_workgroup_info 0
		.amdhsa_system_vgpr_workitem_id 0
		.amdhsa_next_free_vgpr 85
		.amdhsa_next_free_sgpr 98
		.amdhsa_reserve_vcc 1
		.amdhsa_reserve_flat_scratch 0
		.amdhsa_float_round_mode_32 0
		.amdhsa_float_round_mode_16_64 0
		.amdhsa_float_denorm_mode_32 3
		.amdhsa_float_denorm_mode_16_64 3
		.amdhsa_dx10_clamp 1
		.amdhsa_ieee_mode 1
		.amdhsa_fp16_overflow 0
		.amdhsa_exception_fp_ieee_invalid_op 0
		.amdhsa_exception_fp_denorm_src 0
		.amdhsa_exception_fp_ieee_div_zero 0
		.amdhsa_exception_fp_ieee_overflow 0
		.amdhsa_exception_fp_ieee_underflow 0
		.amdhsa_exception_fp_ieee_inexact 0
		.amdhsa_exception_int_div_zero 0
	.end_amdhsa_kernel
	.section	.text._ZN9rocsparseL18bsrsv_upper_sharedILj128ELj64ELi32ELb0E21rocsparse_complex_numIfEEEviNS_24const_host_device_scalarIT3_EEPKiS7_PKS4_iS9_PS4_PiSB_SB_21rocsparse_index_base_20rocsparse_diag_type_20rocsparse_direction_b,"axG",@progbits,_ZN9rocsparseL18bsrsv_upper_sharedILj128ELj64ELi32ELb0E21rocsparse_complex_numIfEEEviNS_24const_host_device_scalarIT3_EEPKiS7_PKS4_iS9_PS4_PiSB_SB_21rocsparse_index_base_20rocsparse_diag_type_20rocsparse_direction_b,comdat
.Lfunc_end60:
	.size	_ZN9rocsparseL18bsrsv_upper_sharedILj128ELj64ELi32ELb0E21rocsparse_complex_numIfEEEviNS_24const_host_device_scalarIT3_EEPKiS7_PKS4_iS9_PS4_PiSB_SB_21rocsparse_index_base_20rocsparse_diag_type_20rocsparse_direction_b, .Lfunc_end60-_ZN9rocsparseL18bsrsv_upper_sharedILj128ELj64ELi32ELb0E21rocsparse_complex_numIfEEEviNS_24const_host_device_scalarIT3_EEPKiS7_PKS4_iS9_PS4_PiSB_SB_21rocsparse_index_base_20rocsparse_diag_type_20rocsparse_direction_b
                                        ; -- End function
	.set _ZN9rocsparseL18bsrsv_upper_sharedILj128ELj64ELi32ELb0E21rocsparse_complex_numIfEEEviNS_24const_host_device_scalarIT3_EEPKiS7_PKS4_iS9_PS4_PiSB_SB_21rocsparse_index_base_20rocsparse_diag_type_20rocsparse_direction_b.num_vgpr, 49
	.set _ZN9rocsparseL18bsrsv_upper_sharedILj128ELj64ELi32ELb0E21rocsparse_complex_numIfEEEviNS_24const_host_device_scalarIT3_EEPKiS7_PKS4_iS9_PS4_PiSB_SB_21rocsparse_index_base_20rocsparse_diag_type_20rocsparse_direction_b.num_agpr, 0
	.set _ZN9rocsparseL18bsrsv_upper_sharedILj128ELj64ELi32ELb0E21rocsparse_complex_numIfEEEviNS_24const_host_device_scalarIT3_EEPKiS7_PKS4_iS9_PS4_PiSB_SB_21rocsparse_index_base_20rocsparse_diag_type_20rocsparse_direction_b.numbered_sgpr, 35
	.set _ZN9rocsparseL18bsrsv_upper_sharedILj128ELj64ELi32ELb0E21rocsparse_complex_numIfEEEviNS_24const_host_device_scalarIT3_EEPKiS7_PKS4_iS9_PS4_PiSB_SB_21rocsparse_index_base_20rocsparse_diag_type_20rocsparse_direction_b.num_named_barrier, 0
	.set _ZN9rocsparseL18bsrsv_upper_sharedILj128ELj64ELi32ELb0E21rocsparse_complex_numIfEEEviNS_24const_host_device_scalarIT3_EEPKiS7_PKS4_iS9_PS4_PiSB_SB_21rocsparse_index_base_20rocsparse_diag_type_20rocsparse_direction_b.private_seg_size, 0
	.set _ZN9rocsparseL18bsrsv_upper_sharedILj128ELj64ELi32ELb0E21rocsparse_complex_numIfEEEviNS_24const_host_device_scalarIT3_EEPKiS7_PKS4_iS9_PS4_PiSB_SB_21rocsparse_index_base_20rocsparse_diag_type_20rocsparse_direction_b.uses_vcc, 1
	.set _ZN9rocsparseL18bsrsv_upper_sharedILj128ELj64ELi32ELb0E21rocsparse_complex_numIfEEEviNS_24const_host_device_scalarIT3_EEPKiS7_PKS4_iS9_PS4_PiSB_SB_21rocsparse_index_base_20rocsparse_diag_type_20rocsparse_direction_b.uses_flat_scratch, 0
	.set _ZN9rocsparseL18bsrsv_upper_sharedILj128ELj64ELi32ELb0E21rocsparse_complex_numIfEEEviNS_24const_host_device_scalarIT3_EEPKiS7_PKS4_iS9_PS4_PiSB_SB_21rocsparse_index_base_20rocsparse_diag_type_20rocsparse_direction_b.has_dyn_sized_stack, 0
	.set _ZN9rocsparseL18bsrsv_upper_sharedILj128ELj64ELi32ELb0E21rocsparse_complex_numIfEEEviNS_24const_host_device_scalarIT3_EEPKiS7_PKS4_iS9_PS4_PiSB_SB_21rocsparse_index_base_20rocsparse_diag_type_20rocsparse_direction_b.has_recursion, 0
	.set _ZN9rocsparseL18bsrsv_upper_sharedILj128ELj64ELi32ELb0E21rocsparse_complex_numIfEEEviNS_24const_host_device_scalarIT3_EEPKiS7_PKS4_iS9_PS4_PiSB_SB_21rocsparse_index_base_20rocsparse_diag_type_20rocsparse_direction_b.has_indirect_call, 0
	.section	.AMDGPU.csdata,"",@progbits
; Kernel info:
; codeLenInByte = 2916
; TotalNumSgprs: 39
; NumVgprs: 49
; ScratchSize: 0
; MemoryBound: 0
; FloatMode: 240
; IeeeMode: 1
; LDSByteSize: 16896 bytes/workgroup (compile time only)
; SGPRBlocks: 12
; VGPRBlocks: 21
; NumSGPRsForWavesPerEU: 102
; NumVGPRsForWavesPerEU: 85
; Occupancy: 2
; WaveLimiterHint : 1
; COMPUTE_PGM_RSRC2:SCRATCH_EN: 0
; COMPUTE_PGM_RSRC2:USER_SGPR: 6
; COMPUTE_PGM_RSRC2:TRAP_HANDLER: 0
; COMPUTE_PGM_RSRC2:TGID_X_EN: 1
; COMPUTE_PGM_RSRC2:TGID_Y_EN: 0
; COMPUTE_PGM_RSRC2:TGID_Z_EN: 0
; COMPUTE_PGM_RSRC2:TIDIG_COMP_CNT: 0
	.section	.text._ZN9rocsparseL19bsrsv_lower_generalILj128ELj64ELb1E21rocsparse_complex_numIfEEEviNS_24const_host_device_scalarIT2_EEPKiS7_PKS4_iS9_PS4_PiSB_SB_21rocsparse_index_base_20rocsparse_diag_type_20rocsparse_direction_b,"axG",@progbits,_ZN9rocsparseL19bsrsv_lower_generalILj128ELj64ELb1E21rocsparse_complex_numIfEEEviNS_24const_host_device_scalarIT2_EEPKiS7_PKS4_iS9_PS4_PiSB_SB_21rocsparse_index_base_20rocsparse_diag_type_20rocsparse_direction_b,comdat
	.globl	_ZN9rocsparseL19bsrsv_lower_generalILj128ELj64ELb1E21rocsparse_complex_numIfEEEviNS_24const_host_device_scalarIT2_EEPKiS7_PKS4_iS9_PS4_PiSB_SB_21rocsparse_index_base_20rocsparse_diag_type_20rocsparse_direction_b ; -- Begin function _ZN9rocsparseL19bsrsv_lower_generalILj128ELj64ELb1E21rocsparse_complex_numIfEEEviNS_24const_host_device_scalarIT2_EEPKiS7_PKS4_iS9_PS4_PiSB_SB_21rocsparse_index_base_20rocsparse_diag_type_20rocsparse_direction_b
	.p2align	8
	.type	_ZN9rocsparseL19bsrsv_lower_generalILj128ELj64ELb1E21rocsparse_complex_numIfEEEviNS_24const_host_device_scalarIT2_EEPKiS7_PKS4_iS9_PS4_PiSB_SB_21rocsparse_index_base_20rocsparse_diag_type_20rocsparse_direction_b,@function
_ZN9rocsparseL19bsrsv_lower_generalILj128ELj64ELb1E21rocsparse_complex_numIfEEEviNS_24const_host_device_scalarIT2_EEPKiS7_PKS4_iS9_PS4_PiSB_SB_21rocsparse_index_base_20rocsparse_diag_type_20rocsparse_direction_b: ; @_ZN9rocsparseL19bsrsv_lower_generalILj128ELj64ELb1E21rocsparse_complex_numIfEEEviNS_24const_host_device_scalarIT2_EEPKiS7_PKS4_iS9_PS4_PiSB_SB_21rocsparse_index_base_20rocsparse_diag_type_20rocsparse_direction_b
; %bb.0:
	s_load_dwordx4 s[16:19], s[4:5], 0x58
	s_load_dwordx2 s[20:21], s[4:5], 0x8
	s_waitcnt lgkmcnt(0)
	s_bitcmp1_b32 s19, 0
	s_cselect_b64 s[2:3], -1, 0
	s_xor_b64 s[0:1], s[2:3], -1
	s_and_b64 vcc, exec, s[2:3]
	s_mov_b32 s19, s20
	s_cbranch_vccnz .LBB61_2
; %bb.1:
	s_load_dword s19, s[20:21], 0x0
.LBB61_2:
	s_andn2_b64 vcc, exec, s[0:1]
	s_cbranch_vccnz .LBB61_4
; %bb.3:
	s_load_dword s21, s[20:21], 0x4
.LBB61_4:
	s_nop 0
	s_load_dword s20, s[4:5], 0x0
	s_lshl_b32 s0, s6, 1
	v_lshrrev_b32_e32 v1, 6, v0
	s_and_b32 s0, s0, 0x3fffffe
	v_or_b32_e32 v1, s0, v1
	s_waitcnt lgkmcnt(0)
	v_cmp_gt_i32_e32 vcc, s20, v1
	s_and_saveexec_b64 s[0:1], vcc
	s_cbranch_execz .LBB61_48
; %bb.5:
	s_load_dwordx8 s[8:15], s[4:5], 0x38
	v_lshlrev_b32_e32 v1, 2, v1
	s_load_dword s33, s[4:5], 0x28
	v_and_b32_e32 v0, 63, v0
	s_waitcnt lgkmcnt(0)
	global_load_dword v1, v1, s[12:13]
	s_load_dwordx4 s[0:3], s[4:5], 0x10
	s_load_dwordx2 s[6:7], s[4:5], 0x20
	s_waitcnt lgkmcnt(0)
	v_mov_b32_e32 v5, s1
	s_waitcnt vmcnt(0)
	v_ashrrev_i32_e32 v2, 31, v1
	v_lshlrev_b64 v[2:3], 2, v[1:2]
	v_add_co_u32_e32 v4, vcc, s0, v2
	v_addc_co_u32_e32 v5, vcc, v5, v3, vcc
	global_load_dwordx2 v[5:6], v[4:5], off
	v_cmp_gt_i32_e64 s[0:1], s33, v0
	s_and_saveexec_b64 s[12:13], s[0:1]
	s_cbranch_execz .LBB61_8
; %bb.6:
	v_mad_u64_u32 v[7:8], s[22:23], v1, s33, v[0:1]
	s_load_dwordx2 s[4:5], s[4:5], 0x30
	v_ashrrev_i32_e32 v8, 31, v7
	v_lshlrev_b64 v[9:10], 3, v[7:8]
	s_waitcnt lgkmcnt(0)
	v_mov_b32_e32 v4, s5
	v_or_b32_e32 v9, 4, v9
	v_add_co_u32_e32 v7, vcc, s4, v9
	v_addc_co_u32_e32 v8, vcc, v4, v10, vcc
	v_mov_b32_e32 v4, s9
	v_add_co_u32_e32 v9, vcc, s8, v9
	v_addc_co_u32_e32 v10, vcc, v4, v10, vcc
	s_mov_b64 s[4:5], 0
	v_mov_b32_e32 v4, v0
.LBB61_7:                               ; =>This Inner Loop Header: Depth=1
	global_load_dwordx2 v[11:12], v[7:8], off offset:-4
	v_add_co_u32_e32 v7, vcc, 0x200, v7
	v_add_u32_e32 v4, 64, v4
	v_addc_co_u32_e32 v8, vcc, 0, v8, vcc
	v_cmp_le_i32_e32 vcc, s33, v4
	s_or_b64 s[4:5], vcc, s[4:5]
	s_waitcnt vmcnt(0)
	v_mul_f32_e64 v13, v12, -s21
	v_mul_f32_e32 v14, s19, v12
	v_fmac_f32_e32 v13, s19, v11
	v_fmac_f32_e32 v14, s21, v11
	global_store_dwordx2 v[9:10], v[13:14], off offset:-4
	v_add_co_u32_e32 v9, vcc, 0x200, v9
	v_addc_co_u32_e32 v10, vcc, 0, v10, vcc
	s_andn2_b64 exec, exec, s[4:5]
	s_cbranch_execnz .LBB61_7
.LBB61_8:
	s_or_b64 exec, exec, s[12:13]
	v_mul_lo_u32 v10, v1, s33
	s_waitcnt vmcnt(0)
	v_subrev_u32_e32 v4, s16, v5
	v_cmp_lt_i32_e32 vcc, v5, v6
	v_mov_b32_e32 v5, s20
	s_and_saveexec_b64 s[4:5], vcc
	s_cbranch_execz .LBB61_28
; %bb.9:
	v_mad_u64_u32 v[7:8], s[12:13], s33, v4, v[0:1]
	s_cmp_lg_u32 s18, 0
	v_subrev_u32_e32 v9, s16, v6
	v_mul_lo_u32 v11, s33, v7
	s_cselect_b64 s[12:13], -1, 0
	s_mul_i32 s19, s33, s33
	s_lshl_b32 s34, s33, 6
	s_mov_b64 s[20:21], 0
	v_mov_b32_e32 v12, s3
                                        ; implicit-def: $sgpr22_sgpr23
	s_branch .LBB61_12
.LBB61_10:                              ;   in Loop: Header=BB61_12 Depth=1
	s_or_b64 exec, exec, s[26:27]
	v_add_u32_e32 v4, 1, v4
	v_cmp_ge_i32_e32 vcc, v4, v9
	s_andn2_b64 s[22:23], s[22:23], exec
	s_and_b64 s[26:27], vcc, exec
	v_add_u32_e32 v11, s19, v11
	s_or_b64 s[22:23], s[22:23], s[26:27]
.LBB61_11:                              ;   in Loop: Header=BB61_12 Depth=1
	s_or_b64 exec, exec, s[24:25]
	s_and_b64 s[24:25], exec, s[22:23]
	s_or_b64 s[20:21], s[24:25], s[20:21]
	s_andn2_b64 exec, exec, s[20:21]
	s_cbranch_execz .LBB61_27
.LBB61_12:                              ; =>This Loop Header: Depth=1
                                        ;     Child Loop BB61_16 Depth 2
                                        ;       Child Loop BB61_17 Depth 3
                                        ;     Child Loop BB61_21 Depth 2
                                        ;       Child Loop BB61_23 Depth 3
	v_ashrrev_i32_e32 v5, 31, v4
	v_lshlrev_b64 v[5:6], 2, v[4:5]
	s_or_b64 s[22:23], s[22:23], exec
	v_add_co_u32_e32 v5, vcc, s2, v5
	v_addc_co_u32_e32 v6, vcc, v12, v6, vcc
	global_load_dword v5, v[5:6], off
	s_waitcnt vmcnt(0)
	v_subrev_u32_e32 v5, s16, v5
	v_cmp_lt_i32_e32 vcc, v5, v1
	s_and_saveexec_b64 s[24:25], vcc
	s_cbranch_execz .LBB61_11
; %bb.13:                               ;   in Loop: Header=BB61_12 Depth=1
	v_ashrrev_i32_e32 v6, 31, v5
	v_lshlrev_b64 v[6:7], 2, v[5:6]
	v_mov_b32_e32 v8, s11
	v_add_co_u32_e32 v6, vcc, s10, v6
	v_addc_co_u32_e32 v7, vcc, v8, v7, vcc
	global_load_dword v8, v[6:7], off glc
	s_waitcnt vmcnt(0)
	v_cmp_eq_u32_e32 vcc, 0, v8
	s_and_saveexec_b64 s[26:27], vcc
	s_cbranch_execz .LBB61_18
; %bb.14:                               ;   in Loop: Header=BB61_12 Depth=1
	s_mov_b32 s3, 0
	s_mov_b64 s[28:29], 0
	s_branch .LBB61_16
.LBB61_15:                              ;   in Loop: Header=BB61_16 Depth=2
	global_load_dword v8, v[6:7], off glc
	s_cmpk_lt_u32 s3, 0xf43
	s_cselect_b64 s[30:31], -1, 0
	s_cmp_lg_u64 s[30:31], 0
	s_addc_u32 s3, s3, 0
	s_waitcnt vmcnt(0)
	v_cmp_ne_u32_e32 vcc, 0, v8
	s_or_b64 s[28:29], vcc, s[28:29]
	s_andn2_b64 exec, exec, s[28:29]
	s_cbranch_execz .LBB61_18
.LBB61_16:                              ;   Parent Loop BB61_12 Depth=1
                                        ; =>  This Loop Header: Depth=2
                                        ;       Child Loop BB61_17 Depth 3
	s_cmp_eq_u32 s3, 0
	s_mov_b32 s30, s3
	s_cbranch_scc1 .LBB61_15
.LBB61_17:                              ;   Parent Loop BB61_12 Depth=1
                                        ;     Parent Loop BB61_16 Depth=2
                                        ; =>    This Inner Loop Header: Depth=3
	s_add_i32 s30, s30, -1
	s_cmp_eq_u32 s30, 0
	s_sleep 1
	s_cbranch_scc0 .LBB61_17
	s_branch .LBB61_15
.LBB61_18:                              ;   in Loop: Header=BB61_12 Depth=1
	s_or_b64 exec, exec, s[26:27]
	buffer_wbinvl1_vol
	s_and_saveexec_b64 s[26:27], s[0:1]
	s_cbranch_execz .LBB61_10
; %bb.19:                               ;   in Loop: Header=BB61_12 Depth=1
	v_mul_lo_u32 v13, v4, s33
	v_mul_lo_u32 v14, v5, s33
	s_mov_b64 s[28:29], 0
	v_mov_b32_e32 v15, v11
	v_mov_b32_e32 v6, v0
	s_branch .LBB61_21
.LBB61_20:                              ;   in Loop: Header=BB61_21 Depth=2
	v_add_u32_e32 v7, v6, v10
	v_ashrrev_i32_e32 v8, 31, v7
	v_lshlrev_b64 v[7:8], 3, v[7:8]
	v_mov_b32_e32 v18, s9
	v_add_co_u32_e32 v7, vcc, s8, v7
	v_addc_co_u32_e32 v8, vcc, v18, v8, vcc
	global_load_dwordx2 v[18:19], v[7:8], off
	v_add_u32_e32 v6, 64, v6
	v_cmp_le_i32_e32 vcc, s33, v6
	s_or_b64 s[28:29], vcc, s[28:29]
	v_add_u32_e32 v15, s34, v15
	s_waitcnt vmcnt(0)
	v_sub_f32_e32 v17, v18, v17
	v_sub_f32_e32 v18, v19, v16
	global_store_dwordx2 v[7:8], v[17:18], off
	s_andn2_b64 exec, exec, s[28:29]
	s_cbranch_execz .LBB61_10
.LBB61_21:                              ;   Parent Loop BB61_12 Depth=1
                                        ; =>  This Loop Header: Depth=2
                                        ;       Child Loop BB61_23 Depth 3
	v_mov_b32_e32 v16, 0
	s_mov_b32 s3, 0
	v_mov_b32_e32 v17, 0
	s_branch .LBB61_23
.LBB61_22:                              ;   in Loop: Header=BB61_23 Depth=3
	v_ashrrev_i32_e32 v8, 31, v7
	v_lshlrev_b64 v[7:8], 3, v[7:8]
	v_mov_b32_e32 v18, s7
	v_add_co_u32_e32 v7, vcc, s6, v7
	v_addc_co_u32_e32 v8, vcc, v18, v8, vcc
	v_add_u32_e32 v18, s3, v14
	v_ashrrev_i32_e32 v19, 31, v18
	v_lshlrev_b64 v[18:19], 3, v[18:19]
	v_mov_b32_e32 v20, s9
	v_add_co_u32_e32 v18, vcc, s8, v18
	v_addc_co_u32_e32 v19, vcc, v20, v19, vcc
	global_load_dwordx2 v[7:8], v[7:8], off
	s_add_i32 s3, s3, 1
	global_load_dwordx2 v[18:19], v[18:19], off
	s_cmp_eq_u32 s33, s3
	s_waitcnt vmcnt(0)
	v_fmac_f32_e32 v17, v7, v18
	v_fmac_f32_e32 v16, v8, v18
	v_fma_f32 v17, -v8, v19, v17
	v_fmac_f32_e32 v16, v7, v19
	s_cbranch_scc1 .LBB61_20
.LBB61_23:                              ;   Parent Loop BB61_12 Depth=1
                                        ;     Parent Loop BB61_21 Depth=2
                                        ; =>    This Inner Loop Header: Depth=3
	s_and_b64 vcc, exec, s[12:13]
	s_cbranch_vccz .LBB61_25
; %bb.24:                               ;   in Loop: Header=BB61_23 Depth=3
	v_add_u32_e32 v7, s3, v13
	v_mad_u64_u32 v[7:8], s[30:31], v7, s33, v[6:7]
	s_cbranch_execnz .LBB61_22
	s_branch .LBB61_26
.LBB61_25:                              ;   in Loop: Header=BB61_23 Depth=3
                                        ; implicit-def: $vgpr7
.LBB61_26:                              ;   in Loop: Header=BB61_23 Depth=3
	v_add_u32_e32 v7, s3, v15
	s_branch .LBB61_22
.LBB61_27:
	s_or_b64 exec, exec, s[20:21]
.LBB61_28:
	s_or_b64 exec, exec, s[4:5]
	s_cmp_gt_i32 s33, 0
	v_cmp_eq_u32_e32 vcc, v5, v1
	s_cselect_b64 s[0:1], -1, 0
	s_mov_b32 s22, 0
	s_and_b64 s[2:3], s[0:1], vcc
	s_mov_b64 s[0:1], 0
	s_and_saveexec_b64 s[4:5], s[2:3]
	s_cbranch_execz .LBB61_42
; %bb.29:
	v_mul_lo_u32 v11, v4, s33
	s_cmp_eq_u32 s17, 0
	s_cselect_b64 s[0:1], -1, 0
	s_cmp_lg_u32 s18, 0
	v_add_u32_e32 v4, v11, v0
	v_mul_lo_u32 v4, s33, v4
	v_add_u32_e32 v12, 1, v0
	s_cselect_b64 s[12:13], -1, 0
	s_add_i32 s17, s33, 1
	v_add_u32_e32 v13, s33, v4
	v_cndmask_b32_e64 v4, 0, 1, s[0:1]
	s_lshl_b32 s23, s33, 6
	s_mov_b64 s[20:21], 0
	v_cmp_ne_u32_e64 s[0:1], 1, v4
	v_mov_b32_e32 v14, s9
                                        ; implicit-def: $sgpr18_sgpr19
	s_and_b64 vcc, exec, s[0:1]
	s_cbranch_vccz .LBB61_31
.LBB61_30:
	v_mov_b32_e32 v7, 0
	v_mov_b32_e32 v6, 1.0
	s_branch .LBB61_32
.LBB61_31:
	s_waitcnt vmcnt(0)
	v_add_u32_e32 v4, s22, v11
	v_mul_lo_u32 v4, v4, s33
	v_mov_b32_e32 v6, s7
	v_add_u32_e32 v4, s22, v4
	v_ashrrev_i32_e32 v5, 31, v4
	v_lshlrev_b64 v[4:5], 3, v[4:5]
	v_add_co_u32_e32 v4, vcc, s6, v4
	v_addc_co_u32_e32 v5, vcc, v6, v5, vcc
	global_load_dwordx2 v[6:7], v[4:5], off
.LBB61_32:
	s_waitcnt vmcnt(0)
	v_add_u32_e32 v4, s22, v10
	v_ashrrev_i32_e32 v5, 31, v4
	v_lshlrev_b64 v[4:5], 3, v[4:5]
	s_waitcnt vmcnt(0)
	v_cmp_neq_f32_e64 s[2:3], 0, v7
	v_add_co_u32_e32 v8, vcc, s8, v4
	v_addc_co_u32_e32 v9, vcc, v14, v5, vcc
	global_load_dwordx2 v[4:5], v[8:9], off
	v_cmp_neq_f32_e32 vcc, 0, v6
	s_or_b64 s[24:25], vcc, s[2:3]
	s_or_b64 s[18:19], s[18:19], exec
	s_and_saveexec_b64 s[2:3], s[24:25]
	s_cbranch_execz .LBB61_34
; %bb.33:
	v_mul_f32_e32 v15, v7, v7
	v_fmac_f32_e32 v15, v6, v6
	v_div_scale_f32 v16, s[24:25], v15, v15, 1.0
	v_div_scale_f32 v17, vcc, 1.0, v15, 1.0
	s_andn2_b64 s[18:19], s[18:19], exec
	s_and_b64 s[20:21], s[20:21], exec
	s_or_b64 s[18:19], s[18:19], s[20:21]
	v_rcp_f32_e32 v18, v16
	v_fma_f32 v19, -v16, v18, 1.0
	v_fmac_f32_e32 v18, v19, v18
	v_mul_f32_e32 v19, v17, v18
	v_fma_f32 v20, -v16, v19, v17
	v_fmac_f32_e32 v19, v20, v18
	v_fma_f32 v16, -v16, v19, v17
	v_div_fmas_f32 v16, v16, v18, v19
	s_waitcnt vmcnt(0)
	v_mul_f32_e32 v17, v7, v5
	v_mul_f32_e64 v7, v7, -v4
	v_fmac_f32_e32 v17, v4, v6
	v_fmac_f32_e32 v7, v5, v6
	v_div_fixup_f32 v5, v16, v15, 1.0
	v_mul_f32_e32 v4, v5, v17
	v_mul_f32_e32 v5, v5, v7
	global_store_dwordx2 v[8:9], v[4:5], off
.LBB61_34:
	s_or_b64 exec, exec, s[2:3]
	v_add_u32_e32 v8, s22, v12
	v_cmp_gt_i32_e32 vcc, s33, v8
	s_and_saveexec_b64 s[2:3], vcc
	s_cbranch_execz .LBB61_39
; %bb.35:
	v_add_u32_e32 v6, s22, v11
	v_mul_lo_u32 v9, v6, s33
	s_mov_b64 s[20:21], 0
	v_mov_b32_e32 v15, v13
	s_branch .LBB61_37
.LBB61_36:                              ;   in Loop: Header=BB61_37 Depth=1
	v_ashrrev_i32_e32 v7, 31, v6
	v_lshlrev_b64 v[6:7], 3, v[6:7]
	v_mov_b32_e32 v16, s7
	v_add_co_u32_e32 v6, vcc, s6, v6
	v_addc_co_u32_e32 v7, vcc, v16, v7, vcc
	v_add_u32_e32 v16, v10, v8
	v_ashrrev_i32_e32 v17, 31, v16
	v_lshlrev_b64 v[16:17], 3, v[16:17]
	global_load_dwordx2 v[6:7], v[6:7], off
	v_mov_b32_e32 v18, s9
	v_add_co_u32_e32 v16, vcc, s8, v16
	v_addc_co_u32_e32 v17, vcc, v18, v17, vcc
	global_load_dwordx2 v[18:19], v[16:17], off
	v_add_u32_e32 v8, 64, v8
	v_cmp_le_i32_e32 vcc, s33, v8
	s_or_b64 s[20:21], vcc, s[20:21]
	v_add_u32_e32 v15, s23, v15
	s_waitcnt vmcnt(1)
	v_mul_f32_e64 v20, v7, -v5
	v_mul_f32_e32 v7, v4, v7
	v_fmac_f32_e32 v20, v4, v6
	v_fmac_f32_e32 v7, v5, v6
	s_waitcnt vmcnt(0)
	v_sub_f32_e32 v6, v18, v20
	v_sub_f32_e32 v7, v19, v7
	global_store_dwordx2 v[16:17], v[6:7], off
	s_andn2_b64 exec, exec, s[20:21]
	s_cbranch_execz .LBB61_39
.LBB61_37:                              ; =>This Inner Loop Header: Depth=1
	s_andn2_b64 vcc, exec, s[12:13]
	v_mov_b32_e32 v6, v15
	s_cbranch_vccnz .LBB61_36
; %bb.38:                               ;   in Loop: Header=BB61_37 Depth=1
	v_add_u32_e32 v6, v8, v9
	s_branch .LBB61_36
.LBB61_39:
	s_or_b64 exec, exec, s[2:3]
	s_add_i32 s22, s22, 1
	s_cmp_eq_u32 s22, s33
	v_add_u32_e32 v13, s17, v13
	s_cbranch_scc1 .LBB61_41
; %bb.40:
	s_mov_b64 s[20:21], s[18:19]
	s_and_b64 vcc, exec, s[0:1]
	s_cbranch_vccnz .LBB61_30
	s_branch .LBB61_31
.LBB61_41:
	s_and_b64 s[0:1], s[18:19], exec
.LBB61_42:
	s_or_b64 exec, exec, s[4:5]
	v_cmp_eq_u32_e32 vcc, 0, v0
	s_and_b64 exec, exec, vcc
	s_cbranch_execz .LBB61_48
; %bb.43:
	v_mov_b32_e32 v0, s11
	v_add_co_u32_e32 v2, vcc, s10, v2
	v_addc_co_u32_e32 v3, vcc, v0, v3, vcc
	v_mov_b32_e32 v0, 1
	s_waitcnt vmcnt(0)
	global_store_dword v[2:3], v0, off
	s_and_b64 exec, exec, s[0:1]
	s_cbranch_execz .LBB61_48
; %bb.44:
	s_mov_b64 s[0:1], exec
	v_add_u32_e32 v0, s16, v1
	s_brev_b32 s2, -2
.LBB61_45:                              ; =>This Inner Loop Header: Depth=1
	s_ff1_i32_b64 s3, s[0:1]
	v_readlane_b32 s6, v0, s3
	s_lshl_b64 s[4:5], 1, s3
	s_min_i32 s2, s2, s6
	s_andn2_b64 s[0:1], s[0:1], s[4:5]
	s_cmp_lg_u64 s[0:1], 0
	s_cbranch_scc1 .LBB61_45
; %bb.46:
	v_mbcnt_lo_u32_b32 v0, exec_lo, 0
	v_mbcnt_hi_u32_b32 v0, exec_hi, v0
	v_cmp_eq_u32_e32 vcc, 0, v0
	s_and_saveexec_b64 s[0:1], vcc
	s_xor_b64 s[0:1], exec, s[0:1]
	s_cbranch_execz .LBB61_48
; %bb.47:
	v_mov_b32_e32 v0, 0
	v_mov_b32_e32 v1, s2
	global_atomic_smin v0, v1, s[14:15]
.LBB61_48:
	s_endpgm
	.section	.rodata,"a",@progbits
	.p2align	6, 0x0
	.amdhsa_kernel _ZN9rocsparseL19bsrsv_lower_generalILj128ELj64ELb1E21rocsparse_complex_numIfEEEviNS_24const_host_device_scalarIT2_EEPKiS7_PKS4_iS9_PS4_PiSB_SB_21rocsparse_index_base_20rocsparse_diag_type_20rocsparse_direction_b
		.amdhsa_group_segment_fixed_size 0
		.amdhsa_private_segment_fixed_size 0
		.amdhsa_kernarg_size 104
		.amdhsa_user_sgpr_count 6
		.amdhsa_user_sgpr_private_segment_buffer 1
		.amdhsa_user_sgpr_dispatch_ptr 0
		.amdhsa_user_sgpr_queue_ptr 0
		.amdhsa_user_sgpr_kernarg_segment_ptr 1
		.amdhsa_user_sgpr_dispatch_id 0
		.amdhsa_user_sgpr_flat_scratch_init 0
		.amdhsa_user_sgpr_private_segment_size 0
		.amdhsa_uses_dynamic_stack 0
		.amdhsa_system_sgpr_private_segment_wavefront_offset 0
		.amdhsa_system_sgpr_workgroup_id_x 1
		.amdhsa_system_sgpr_workgroup_id_y 0
		.amdhsa_system_sgpr_workgroup_id_z 0
		.amdhsa_system_sgpr_workgroup_info 0
		.amdhsa_system_vgpr_workitem_id 0
		.amdhsa_next_free_vgpr 21
		.amdhsa_next_free_sgpr 35
		.amdhsa_reserve_vcc 1
		.amdhsa_reserve_flat_scratch 0
		.amdhsa_float_round_mode_32 0
		.amdhsa_float_round_mode_16_64 0
		.amdhsa_float_denorm_mode_32 3
		.amdhsa_float_denorm_mode_16_64 3
		.amdhsa_dx10_clamp 1
		.amdhsa_ieee_mode 1
		.amdhsa_fp16_overflow 0
		.amdhsa_exception_fp_ieee_invalid_op 0
		.amdhsa_exception_fp_denorm_src 0
		.amdhsa_exception_fp_ieee_div_zero 0
		.amdhsa_exception_fp_ieee_overflow 0
		.amdhsa_exception_fp_ieee_underflow 0
		.amdhsa_exception_fp_ieee_inexact 0
		.amdhsa_exception_int_div_zero 0
	.end_amdhsa_kernel
	.section	.text._ZN9rocsparseL19bsrsv_lower_generalILj128ELj64ELb1E21rocsparse_complex_numIfEEEviNS_24const_host_device_scalarIT2_EEPKiS7_PKS4_iS9_PS4_PiSB_SB_21rocsparse_index_base_20rocsparse_diag_type_20rocsparse_direction_b,"axG",@progbits,_ZN9rocsparseL19bsrsv_lower_generalILj128ELj64ELb1E21rocsparse_complex_numIfEEEviNS_24const_host_device_scalarIT2_EEPKiS7_PKS4_iS9_PS4_PiSB_SB_21rocsparse_index_base_20rocsparse_diag_type_20rocsparse_direction_b,comdat
.Lfunc_end61:
	.size	_ZN9rocsparseL19bsrsv_lower_generalILj128ELj64ELb1E21rocsparse_complex_numIfEEEviNS_24const_host_device_scalarIT2_EEPKiS7_PKS4_iS9_PS4_PiSB_SB_21rocsparse_index_base_20rocsparse_diag_type_20rocsparse_direction_b, .Lfunc_end61-_ZN9rocsparseL19bsrsv_lower_generalILj128ELj64ELb1E21rocsparse_complex_numIfEEEviNS_24const_host_device_scalarIT2_EEPKiS7_PKS4_iS9_PS4_PiSB_SB_21rocsparse_index_base_20rocsparse_diag_type_20rocsparse_direction_b
                                        ; -- End function
	.set _ZN9rocsparseL19bsrsv_lower_generalILj128ELj64ELb1E21rocsparse_complex_numIfEEEviNS_24const_host_device_scalarIT2_EEPKiS7_PKS4_iS9_PS4_PiSB_SB_21rocsparse_index_base_20rocsparse_diag_type_20rocsparse_direction_b.num_vgpr, 21
	.set _ZN9rocsparseL19bsrsv_lower_generalILj128ELj64ELb1E21rocsparse_complex_numIfEEEviNS_24const_host_device_scalarIT2_EEPKiS7_PKS4_iS9_PS4_PiSB_SB_21rocsparse_index_base_20rocsparse_diag_type_20rocsparse_direction_b.num_agpr, 0
	.set _ZN9rocsparseL19bsrsv_lower_generalILj128ELj64ELb1E21rocsparse_complex_numIfEEEviNS_24const_host_device_scalarIT2_EEPKiS7_PKS4_iS9_PS4_PiSB_SB_21rocsparse_index_base_20rocsparse_diag_type_20rocsparse_direction_b.numbered_sgpr, 35
	.set _ZN9rocsparseL19bsrsv_lower_generalILj128ELj64ELb1E21rocsparse_complex_numIfEEEviNS_24const_host_device_scalarIT2_EEPKiS7_PKS4_iS9_PS4_PiSB_SB_21rocsparse_index_base_20rocsparse_diag_type_20rocsparse_direction_b.num_named_barrier, 0
	.set _ZN9rocsparseL19bsrsv_lower_generalILj128ELj64ELb1E21rocsparse_complex_numIfEEEviNS_24const_host_device_scalarIT2_EEPKiS7_PKS4_iS9_PS4_PiSB_SB_21rocsparse_index_base_20rocsparse_diag_type_20rocsparse_direction_b.private_seg_size, 0
	.set _ZN9rocsparseL19bsrsv_lower_generalILj128ELj64ELb1E21rocsparse_complex_numIfEEEviNS_24const_host_device_scalarIT2_EEPKiS7_PKS4_iS9_PS4_PiSB_SB_21rocsparse_index_base_20rocsparse_diag_type_20rocsparse_direction_b.uses_vcc, 1
	.set _ZN9rocsparseL19bsrsv_lower_generalILj128ELj64ELb1E21rocsparse_complex_numIfEEEviNS_24const_host_device_scalarIT2_EEPKiS7_PKS4_iS9_PS4_PiSB_SB_21rocsparse_index_base_20rocsparse_diag_type_20rocsparse_direction_b.uses_flat_scratch, 0
	.set _ZN9rocsparseL19bsrsv_lower_generalILj128ELj64ELb1E21rocsparse_complex_numIfEEEviNS_24const_host_device_scalarIT2_EEPKiS7_PKS4_iS9_PS4_PiSB_SB_21rocsparse_index_base_20rocsparse_diag_type_20rocsparse_direction_b.has_dyn_sized_stack, 0
	.set _ZN9rocsparseL19bsrsv_lower_generalILj128ELj64ELb1E21rocsparse_complex_numIfEEEviNS_24const_host_device_scalarIT2_EEPKiS7_PKS4_iS9_PS4_PiSB_SB_21rocsparse_index_base_20rocsparse_diag_type_20rocsparse_direction_b.has_recursion, 0
	.set _ZN9rocsparseL19bsrsv_lower_generalILj128ELj64ELb1E21rocsparse_complex_numIfEEEviNS_24const_host_device_scalarIT2_EEPKiS7_PKS4_iS9_PS4_PiSB_SB_21rocsparse_index_base_20rocsparse_diag_type_20rocsparse_direction_b.has_indirect_call, 0
	.section	.AMDGPU.csdata,"",@progbits
; Kernel info:
; codeLenInByte = 1760
; TotalNumSgprs: 39
; NumVgprs: 21
; ScratchSize: 0
; MemoryBound: 0
; FloatMode: 240
; IeeeMode: 1
; LDSByteSize: 0 bytes/workgroup (compile time only)
; SGPRBlocks: 4
; VGPRBlocks: 5
; NumSGPRsForWavesPerEU: 39
; NumVGPRsForWavesPerEU: 21
; Occupancy: 10
; WaveLimiterHint : 1
; COMPUTE_PGM_RSRC2:SCRATCH_EN: 0
; COMPUTE_PGM_RSRC2:USER_SGPR: 6
; COMPUTE_PGM_RSRC2:TRAP_HANDLER: 0
; COMPUTE_PGM_RSRC2:TGID_X_EN: 1
; COMPUTE_PGM_RSRC2:TGID_Y_EN: 0
; COMPUTE_PGM_RSRC2:TGID_Z_EN: 0
; COMPUTE_PGM_RSRC2:TIDIG_COMP_CNT: 0
	.section	.text._ZN9rocsparseL19bsrsv_lower_generalILj128ELj64ELb0E21rocsparse_complex_numIfEEEviNS_24const_host_device_scalarIT2_EEPKiS7_PKS4_iS9_PS4_PiSB_SB_21rocsparse_index_base_20rocsparse_diag_type_20rocsparse_direction_b,"axG",@progbits,_ZN9rocsparseL19bsrsv_lower_generalILj128ELj64ELb0E21rocsparse_complex_numIfEEEviNS_24const_host_device_scalarIT2_EEPKiS7_PKS4_iS9_PS4_PiSB_SB_21rocsparse_index_base_20rocsparse_diag_type_20rocsparse_direction_b,comdat
	.globl	_ZN9rocsparseL19bsrsv_lower_generalILj128ELj64ELb0E21rocsparse_complex_numIfEEEviNS_24const_host_device_scalarIT2_EEPKiS7_PKS4_iS9_PS4_PiSB_SB_21rocsparse_index_base_20rocsparse_diag_type_20rocsparse_direction_b ; -- Begin function _ZN9rocsparseL19bsrsv_lower_generalILj128ELj64ELb0E21rocsparse_complex_numIfEEEviNS_24const_host_device_scalarIT2_EEPKiS7_PKS4_iS9_PS4_PiSB_SB_21rocsparse_index_base_20rocsparse_diag_type_20rocsparse_direction_b
	.p2align	8
	.type	_ZN9rocsparseL19bsrsv_lower_generalILj128ELj64ELb0E21rocsparse_complex_numIfEEEviNS_24const_host_device_scalarIT2_EEPKiS7_PKS4_iS9_PS4_PiSB_SB_21rocsparse_index_base_20rocsparse_diag_type_20rocsparse_direction_b,@function
_ZN9rocsparseL19bsrsv_lower_generalILj128ELj64ELb0E21rocsparse_complex_numIfEEEviNS_24const_host_device_scalarIT2_EEPKiS7_PKS4_iS9_PS4_PiSB_SB_21rocsparse_index_base_20rocsparse_diag_type_20rocsparse_direction_b: ; @_ZN9rocsparseL19bsrsv_lower_generalILj128ELj64ELb0E21rocsparse_complex_numIfEEEviNS_24const_host_device_scalarIT2_EEPKiS7_PKS4_iS9_PS4_PiSB_SB_21rocsparse_index_base_20rocsparse_diag_type_20rocsparse_direction_b
; %bb.0:
	s_load_dwordx4 s[16:19], s[4:5], 0x58
	s_load_dwordx2 s[20:21], s[4:5], 0x8
	s_waitcnt lgkmcnt(0)
	s_bitcmp1_b32 s19, 0
	s_cselect_b64 s[2:3], -1, 0
	s_xor_b64 s[0:1], s[2:3], -1
	s_and_b64 vcc, exec, s[2:3]
	s_mov_b32 s19, s20
	s_cbranch_vccnz .LBB62_2
; %bb.1:
	s_load_dword s19, s[20:21], 0x0
.LBB62_2:
	s_andn2_b64 vcc, exec, s[0:1]
	s_cbranch_vccnz .LBB62_4
; %bb.3:
	s_load_dword s21, s[20:21], 0x4
.LBB62_4:
	s_nop 0
	s_load_dword s20, s[4:5], 0x0
	s_lshl_b32 s0, s6, 1
	v_lshrrev_b32_e32 v1, 6, v0
	s_and_b32 s0, s0, 0x3fffffe
	v_or_b32_e32 v1, s0, v1
	s_waitcnt lgkmcnt(0)
	v_cmp_gt_i32_e32 vcc, s20, v1
	s_and_saveexec_b64 s[0:1], vcc
	s_cbranch_execz .LBB62_46
; %bb.5:
	s_load_dwordx8 s[8:15], s[4:5], 0x38
	v_lshlrev_b32_e32 v1, 2, v1
	s_load_dword s33, s[4:5], 0x28
	v_and_b32_e32 v0, 63, v0
	s_waitcnt lgkmcnt(0)
	global_load_dword v1, v1, s[12:13]
	s_load_dwordx4 s[0:3], s[4:5], 0x10
	s_load_dwordx2 s[6:7], s[4:5], 0x20
	s_waitcnt lgkmcnt(0)
	v_mov_b32_e32 v5, s1
	s_waitcnt vmcnt(0)
	v_ashrrev_i32_e32 v2, 31, v1
	v_lshlrev_b64 v[2:3], 2, v[1:2]
	v_add_co_u32_e32 v4, vcc, s0, v2
	v_addc_co_u32_e32 v5, vcc, v5, v3, vcc
	global_load_dwordx2 v[5:6], v[4:5], off
	v_cmp_gt_i32_e64 s[0:1], s33, v0
	s_and_saveexec_b64 s[12:13], s[0:1]
	s_cbranch_execz .LBB62_8
; %bb.6:
	v_mad_u64_u32 v[7:8], s[22:23], v1, s33, v[0:1]
	s_load_dwordx2 s[4:5], s[4:5], 0x30
	v_ashrrev_i32_e32 v8, 31, v7
	v_lshlrev_b64 v[9:10], 3, v[7:8]
	s_waitcnt lgkmcnt(0)
	v_mov_b32_e32 v4, s5
	v_or_b32_e32 v9, 4, v9
	v_add_co_u32_e32 v7, vcc, s4, v9
	v_addc_co_u32_e32 v8, vcc, v4, v10, vcc
	v_mov_b32_e32 v4, s9
	v_add_co_u32_e32 v9, vcc, s8, v9
	v_addc_co_u32_e32 v10, vcc, v4, v10, vcc
	s_mov_b64 s[4:5], 0
	v_mov_b32_e32 v4, v0
.LBB62_7:                               ; =>This Inner Loop Header: Depth=1
	global_load_dwordx2 v[11:12], v[7:8], off offset:-4
	v_add_co_u32_e32 v7, vcc, 0x200, v7
	v_add_u32_e32 v4, 64, v4
	v_addc_co_u32_e32 v8, vcc, 0, v8, vcc
	v_cmp_le_i32_e32 vcc, s33, v4
	s_or_b64 s[4:5], vcc, s[4:5]
	s_waitcnt vmcnt(0)
	v_mul_f32_e64 v13, v12, -s21
	v_mul_f32_e32 v14, s19, v12
	v_fmac_f32_e32 v13, s19, v11
	v_fmac_f32_e32 v14, s21, v11
	global_store_dwordx2 v[9:10], v[13:14], off offset:-4
	v_add_co_u32_e32 v9, vcc, 0x200, v9
	v_addc_co_u32_e32 v10, vcc, 0, v10, vcc
	s_andn2_b64 exec, exec, s[4:5]
	s_cbranch_execnz .LBB62_7
.LBB62_8:
	s_or_b64 exec, exec, s[12:13]
	v_mul_lo_u32 v10, v1, s33
	s_waitcnt vmcnt(0)
	v_subrev_u32_e32 v4, s16, v5
	v_cmp_lt_i32_e32 vcc, v5, v6
	v_mov_b32_e32 v5, s20
	s_and_saveexec_b64 s[4:5], vcc
	s_cbranch_execz .LBB62_26
; %bb.9:
	v_mad_u64_u32 v[7:8], s[12:13], s33, v4, v[0:1]
	s_cmp_lg_u32 s18, 0
	v_subrev_u32_e32 v9, s16, v6
	v_mul_lo_u32 v11, s33, v7
	s_cselect_b64 s[12:13], -1, 0
	s_mul_i32 s19, s33, s33
	s_lshl_b32 s34, s33, 6
	s_mov_b64 s[20:21], 0
	v_mov_b32_e32 v12, s3
                                        ; implicit-def: $sgpr22_sgpr23
	s_branch .LBB62_12
.LBB62_10:                              ;   in Loop: Header=BB62_12 Depth=1
	s_or_b64 exec, exec, s[26:27]
	v_add_u32_e32 v4, 1, v4
	v_cmp_ge_i32_e32 vcc, v4, v9
	s_andn2_b64 s[22:23], s[22:23], exec
	s_and_b64 s[26:27], vcc, exec
	v_add_u32_e32 v11, s19, v11
	s_or_b64 s[22:23], s[22:23], s[26:27]
.LBB62_11:                              ;   in Loop: Header=BB62_12 Depth=1
	s_or_b64 exec, exec, s[24:25]
	s_and_b64 s[24:25], exec, s[22:23]
	s_or_b64 s[20:21], s[24:25], s[20:21]
	s_andn2_b64 exec, exec, s[20:21]
	s_cbranch_execz .LBB62_25
.LBB62_12:                              ; =>This Loop Header: Depth=1
                                        ;     Child Loop BB62_15 Depth 2
                                        ;     Child Loop BB62_19 Depth 2
                                        ;       Child Loop BB62_21 Depth 3
	v_ashrrev_i32_e32 v5, 31, v4
	v_lshlrev_b64 v[5:6], 2, v[4:5]
	s_or_b64 s[22:23], s[22:23], exec
	v_add_co_u32_e32 v5, vcc, s2, v5
	v_addc_co_u32_e32 v6, vcc, v12, v6, vcc
	global_load_dword v5, v[5:6], off
	s_waitcnt vmcnt(0)
	v_subrev_u32_e32 v5, s16, v5
	v_cmp_lt_i32_e32 vcc, v5, v1
	s_and_saveexec_b64 s[24:25], vcc
	s_cbranch_execz .LBB62_11
; %bb.13:                               ;   in Loop: Header=BB62_12 Depth=1
	v_ashrrev_i32_e32 v6, 31, v5
	v_lshlrev_b64 v[6:7], 2, v[5:6]
	v_mov_b32_e32 v8, s11
	v_add_co_u32_e32 v6, vcc, s10, v6
	v_addc_co_u32_e32 v7, vcc, v8, v7, vcc
	global_load_dword v8, v[6:7], off glc
	s_waitcnt vmcnt(0)
	v_cmp_eq_u32_e32 vcc, 0, v8
	s_and_saveexec_b64 s[26:27], vcc
	s_cbranch_execz .LBB62_16
; %bb.14:                               ;   in Loop: Header=BB62_12 Depth=1
	s_mov_b64 s[28:29], 0
.LBB62_15:                              ;   Parent Loop BB62_12 Depth=1
                                        ; =>  This Inner Loop Header: Depth=2
	global_load_dword v8, v[6:7], off glc
	s_waitcnt vmcnt(0)
	v_cmp_ne_u32_e32 vcc, 0, v8
	s_or_b64 s[28:29], vcc, s[28:29]
	s_andn2_b64 exec, exec, s[28:29]
	s_cbranch_execnz .LBB62_15
.LBB62_16:                              ;   in Loop: Header=BB62_12 Depth=1
	s_or_b64 exec, exec, s[26:27]
	buffer_wbinvl1_vol
	s_and_saveexec_b64 s[26:27], s[0:1]
	s_cbranch_execz .LBB62_10
; %bb.17:                               ;   in Loop: Header=BB62_12 Depth=1
	v_mul_lo_u32 v13, v4, s33
	v_mul_lo_u32 v14, v5, s33
	s_mov_b64 s[28:29], 0
	v_mov_b32_e32 v15, v11
	v_mov_b32_e32 v6, v0
	s_branch .LBB62_19
.LBB62_18:                              ;   in Loop: Header=BB62_19 Depth=2
	v_add_u32_e32 v7, v6, v10
	v_ashrrev_i32_e32 v8, 31, v7
	v_lshlrev_b64 v[7:8], 3, v[7:8]
	v_mov_b32_e32 v18, s9
	v_add_co_u32_e32 v7, vcc, s8, v7
	v_addc_co_u32_e32 v8, vcc, v18, v8, vcc
	global_load_dwordx2 v[18:19], v[7:8], off
	v_add_u32_e32 v6, 64, v6
	v_cmp_le_i32_e32 vcc, s33, v6
	s_or_b64 s[28:29], vcc, s[28:29]
	v_add_u32_e32 v15, s34, v15
	s_waitcnt vmcnt(0)
	v_sub_f32_e32 v17, v18, v17
	v_sub_f32_e32 v18, v19, v16
	global_store_dwordx2 v[7:8], v[17:18], off
	s_andn2_b64 exec, exec, s[28:29]
	s_cbranch_execz .LBB62_10
.LBB62_19:                              ;   Parent Loop BB62_12 Depth=1
                                        ; =>  This Loop Header: Depth=2
                                        ;       Child Loop BB62_21 Depth 3
	v_mov_b32_e32 v16, 0
	s_mov_b32 s3, 0
	v_mov_b32_e32 v17, 0
	s_branch .LBB62_21
.LBB62_20:                              ;   in Loop: Header=BB62_21 Depth=3
	v_ashrrev_i32_e32 v8, 31, v7
	v_lshlrev_b64 v[7:8], 3, v[7:8]
	v_mov_b32_e32 v18, s7
	v_add_co_u32_e32 v7, vcc, s6, v7
	v_addc_co_u32_e32 v8, vcc, v18, v8, vcc
	v_add_u32_e32 v18, s3, v14
	v_ashrrev_i32_e32 v19, 31, v18
	v_lshlrev_b64 v[18:19], 3, v[18:19]
	v_mov_b32_e32 v20, s9
	v_add_co_u32_e32 v18, vcc, s8, v18
	v_addc_co_u32_e32 v19, vcc, v20, v19, vcc
	global_load_dwordx2 v[7:8], v[7:8], off
	s_add_i32 s3, s3, 1
	global_load_dwordx2 v[18:19], v[18:19], off
	s_cmp_eq_u32 s33, s3
	s_waitcnt vmcnt(0)
	v_fmac_f32_e32 v17, v7, v18
	v_fmac_f32_e32 v16, v8, v18
	v_fma_f32 v17, -v8, v19, v17
	v_fmac_f32_e32 v16, v7, v19
	s_cbranch_scc1 .LBB62_18
.LBB62_21:                              ;   Parent Loop BB62_12 Depth=1
                                        ;     Parent Loop BB62_19 Depth=2
                                        ; =>    This Inner Loop Header: Depth=3
	s_and_b64 vcc, exec, s[12:13]
	s_cbranch_vccz .LBB62_23
; %bb.22:                               ;   in Loop: Header=BB62_21 Depth=3
	v_add_u32_e32 v7, s3, v13
	v_mad_u64_u32 v[7:8], s[30:31], v7, s33, v[6:7]
	s_cbranch_execnz .LBB62_20
	s_branch .LBB62_24
.LBB62_23:                              ;   in Loop: Header=BB62_21 Depth=3
                                        ; implicit-def: $vgpr7
.LBB62_24:                              ;   in Loop: Header=BB62_21 Depth=3
	v_add_u32_e32 v7, s3, v15
	s_branch .LBB62_20
.LBB62_25:
	s_or_b64 exec, exec, s[20:21]
.LBB62_26:
	s_or_b64 exec, exec, s[4:5]
	s_cmp_gt_i32 s33, 0
	v_cmp_eq_u32_e32 vcc, v5, v1
	s_cselect_b64 s[0:1], -1, 0
	s_mov_b32 s22, 0
	s_and_b64 s[2:3], s[0:1], vcc
	s_mov_b64 s[0:1], 0
	s_and_saveexec_b64 s[4:5], s[2:3]
	s_cbranch_execz .LBB62_40
; %bb.27:
	v_mul_lo_u32 v11, v4, s33
	s_cmp_eq_u32 s17, 0
	s_cselect_b64 s[0:1], -1, 0
	s_cmp_lg_u32 s18, 0
	v_add_u32_e32 v4, v11, v0
	v_mul_lo_u32 v4, s33, v4
	v_add_u32_e32 v12, 1, v0
	s_cselect_b64 s[12:13], -1, 0
	s_add_i32 s17, s33, 1
	v_add_u32_e32 v13, s33, v4
	v_cndmask_b32_e64 v4, 0, 1, s[0:1]
	s_lshl_b32 s23, s33, 6
	s_mov_b64 s[20:21], 0
	v_cmp_ne_u32_e64 s[0:1], 1, v4
	v_mov_b32_e32 v14, s9
                                        ; implicit-def: $sgpr18_sgpr19
	s_and_b64 vcc, exec, s[0:1]
	s_cbranch_vccz .LBB62_29
.LBB62_28:
	v_mov_b32_e32 v7, 0
	v_mov_b32_e32 v6, 1.0
	s_branch .LBB62_30
.LBB62_29:
	s_waitcnt vmcnt(0)
	v_add_u32_e32 v4, s22, v11
	v_mul_lo_u32 v4, v4, s33
	v_mov_b32_e32 v6, s7
	v_add_u32_e32 v4, s22, v4
	v_ashrrev_i32_e32 v5, 31, v4
	v_lshlrev_b64 v[4:5], 3, v[4:5]
	v_add_co_u32_e32 v4, vcc, s6, v4
	v_addc_co_u32_e32 v5, vcc, v6, v5, vcc
	global_load_dwordx2 v[6:7], v[4:5], off
.LBB62_30:
	s_waitcnt vmcnt(0)
	v_add_u32_e32 v4, s22, v10
	v_ashrrev_i32_e32 v5, 31, v4
	v_lshlrev_b64 v[4:5], 3, v[4:5]
	s_waitcnt vmcnt(0)
	v_cmp_neq_f32_e64 s[2:3], 0, v7
	v_add_co_u32_e32 v8, vcc, s8, v4
	v_addc_co_u32_e32 v9, vcc, v14, v5, vcc
	global_load_dwordx2 v[4:5], v[8:9], off
	v_cmp_neq_f32_e32 vcc, 0, v6
	s_or_b64 s[24:25], vcc, s[2:3]
	s_or_b64 s[18:19], s[18:19], exec
	s_and_saveexec_b64 s[2:3], s[24:25]
	s_cbranch_execz .LBB62_32
; %bb.31:
	v_mul_f32_e32 v15, v7, v7
	v_fmac_f32_e32 v15, v6, v6
	v_div_scale_f32 v16, s[24:25], v15, v15, 1.0
	v_div_scale_f32 v17, vcc, 1.0, v15, 1.0
	s_andn2_b64 s[18:19], s[18:19], exec
	s_and_b64 s[20:21], s[20:21], exec
	s_or_b64 s[18:19], s[18:19], s[20:21]
	v_rcp_f32_e32 v18, v16
	v_fma_f32 v19, -v16, v18, 1.0
	v_fmac_f32_e32 v18, v19, v18
	v_mul_f32_e32 v19, v17, v18
	v_fma_f32 v20, -v16, v19, v17
	v_fmac_f32_e32 v19, v20, v18
	v_fma_f32 v16, -v16, v19, v17
	v_div_fmas_f32 v16, v16, v18, v19
	s_waitcnt vmcnt(0)
	v_mul_f32_e32 v17, v7, v5
	v_mul_f32_e64 v7, v7, -v4
	v_fmac_f32_e32 v17, v4, v6
	v_fmac_f32_e32 v7, v5, v6
	v_div_fixup_f32 v5, v16, v15, 1.0
	v_mul_f32_e32 v4, v5, v17
	v_mul_f32_e32 v5, v5, v7
	global_store_dwordx2 v[8:9], v[4:5], off
.LBB62_32:
	s_or_b64 exec, exec, s[2:3]
	v_add_u32_e32 v8, s22, v12
	v_cmp_gt_i32_e32 vcc, s33, v8
	s_and_saveexec_b64 s[2:3], vcc
	s_cbranch_execz .LBB62_37
; %bb.33:
	v_add_u32_e32 v6, s22, v11
	v_mul_lo_u32 v9, v6, s33
	s_mov_b64 s[20:21], 0
	v_mov_b32_e32 v15, v13
	s_branch .LBB62_35
.LBB62_34:                              ;   in Loop: Header=BB62_35 Depth=1
	v_ashrrev_i32_e32 v7, 31, v6
	v_lshlrev_b64 v[6:7], 3, v[6:7]
	v_mov_b32_e32 v16, s7
	v_add_co_u32_e32 v6, vcc, s6, v6
	v_addc_co_u32_e32 v7, vcc, v16, v7, vcc
	v_add_u32_e32 v16, v10, v8
	v_ashrrev_i32_e32 v17, 31, v16
	v_lshlrev_b64 v[16:17], 3, v[16:17]
	global_load_dwordx2 v[6:7], v[6:7], off
	v_mov_b32_e32 v18, s9
	v_add_co_u32_e32 v16, vcc, s8, v16
	v_addc_co_u32_e32 v17, vcc, v18, v17, vcc
	global_load_dwordx2 v[18:19], v[16:17], off
	v_add_u32_e32 v8, 64, v8
	v_cmp_le_i32_e32 vcc, s33, v8
	s_or_b64 s[20:21], vcc, s[20:21]
	v_add_u32_e32 v15, s23, v15
	s_waitcnt vmcnt(1)
	v_mul_f32_e64 v20, v7, -v5
	v_mul_f32_e32 v7, v4, v7
	v_fmac_f32_e32 v20, v4, v6
	v_fmac_f32_e32 v7, v5, v6
	s_waitcnt vmcnt(0)
	v_sub_f32_e32 v6, v18, v20
	v_sub_f32_e32 v7, v19, v7
	global_store_dwordx2 v[16:17], v[6:7], off
	s_andn2_b64 exec, exec, s[20:21]
	s_cbranch_execz .LBB62_37
.LBB62_35:                              ; =>This Inner Loop Header: Depth=1
	s_andn2_b64 vcc, exec, s[12:13]
	v_mov_b32_e32 v6, v15
	s_cbranch_vccnz .LBB62_34
; %bb.36:                               ;   in Loop: Header=BB62_35 Depth=1
	v_add_u32_e32 v6, v8, v9
	s_branch .LBB62_34
.LBB62_37:
	s_or_b64 exec, exec, s[2:3]
	s_add_i32 s22, s22, 1
	s_cmp_eq_u32 s22, s33
	v_add_u32_e32 v13, s17, v13
	s_cbranch_scc1 .LBB62_39
; %bb.38:
	s_mov_b64 s[20:21], s[18:19]
	s_and_b64 vcc, exec, s[0:1]
	s_cbranch_vccnz .LBB62_28
	s_branch .LBB62_29
.LBB62_39:
	s_and_b64 s[0:1], s[18:19], exec
.LBB62_40:
	s_or_b64 exec, exec, s[4:5]
	v_cmp_eq_u32_e32 vcc, 0, v0
	s_and_b64 exec, exec, vcc
	s_cbranch_execz .LBB62_46
; %bb.41:
	v_mov_b32_e32 v0, s11
	v_add_co_u32_e32 v2, vcc, s10, v2
	v_addc_co_u32_e32 v3, vcc, v0, v3, vcc
	v_mov_b32_e32 v0, 1
	s_waitcnt vmcnt(0)
	global_store_dword v[2:3], v0, off
	s_and_b64 exec, exec, s[0:1]
	s_cbranch_execz .LBB62_46
; %bb.42:
	s_mov_b64 s[0:1], exec
	v_add_u32_e32 v0, s16, v1
	s_brev_b32 s2, -2
.LBB62_43:                              ; =>This Inner Loop Header: Depth=1
	s_ff1_i32_b64 s3, s[0:1]
	v_readlane_b32 s6, v0, s3
	s_lshl_b64 s[4:5], 1, s3
	s_min_i32 s2, s2, s6
	s_andn2_b64 s[0:1], s[0:1], s[4:5]
	s_cmp_lg_u64 s[0:1], 0
	s_cbranch_scc1 .LBB62_43
; %bb.44:
	v_mbcnt_lo_u32_b32 v0, exec_lo, 0
	v_mbcnt_hi_u32_b32 v0, exec_hi, v0
	v_cmp_eq_u32_e32 vcc, 0, v0
	s_and_saveexec_b64 s[0:1], vcc
	s_xor_b64 s[0:1], exec, s[0:1]
	s_cbranch_execz .LBB62_46
; %bb.45:
	v_mov_b32_e32 v0, 0
	v_mov_b32_e32 v1, s2
	global_atomic_smin v0, v1, s[14:15]
.LBB62_46:
	s_endpgm
	.section	.rodata,"a",@progbits
	.p2align	6, 0x0
	.amdhsa_kernel _ZN9rocsparseL19bsrsv_lower_generalILj128ELj64ELb0E21rocsparse_complex_numIfEEEviNS_24const_host_device_scalarIT2_EEPKiS7_PKS4_iS9_PS4_PiSB_SB_21rocsparse_index_base_20rocsparse_diag_type_20rocsparse_direction_b
		.amdhsa_group_segment_fixed_size 0
		.amdhsa_private_segment_fixed_size 0
		.amdhsa_kernarg_size 104
		.amdhsa_user_sgpr_count 6
		.amdhsa_user_sgpr_private_segment_buffer 1
		.amdhsa_user_sgpr_dispatch_ptr 0
		.amdhsa_user_sgpr_queue_ptr 0
		.amdhsa_user_sgpr_kernarg_segment_ptr 1
		.amdhsa_user_sgpr_dispatch_id 0
		.amdhsa_user_sgpr_flat_scratch_init 0
		.amdhsa_user_sgpr_private_segment_size 0
		.amdhsa_uses_dynamic_stack 0
		.amdhsa_system_sgpr_private_segment_wavefront_offset 0
		.amdhsa_system_sgpr_workgroup_id_x 1
		.amdhsa_system_sgpr_workgroup_id_y 0
		.amdhsa_system_sgpr_workgroup_id_z 0
		.amdhsa_system_sgpr_workgroup_info 0
		.amdhsa_system_vgpr_workitem_id 0
		.amdhsa_next_free_vgpr 21
		.amdhsa_next_free_sgpr 35
		.amdhsa_reserve_vcc 1
		.amdhsa_reserve_flat_scratch 0
		.amdhsa_float_round_mode_32 0
		.amdhsa_float_round_mode_16_64 0
		.amdhsa_float_denorm_mode_32 3
		.amdhsa_float_denorm_mode_16_64 3
		.amdhsa_dx10_clamp 1
		.amdhsa_ieee_mode 1
		.amdhsa_fp16_overflow 0
		.amdhsa_exception_fp_ieee_invalid_op 0
		.amdhsa_exception_fp_denorm_src 0
		.amdhsa_exception_fp_ieee_div_zero 0
		.amdhsa_exception_fp_ieee_overflow 0
		.amdhsa_exception_fp_ieee_underflow 0
		.amdhsa_exception_fp_ieee_inexact 0
		.amdhsa_exception_int_div_zero 0
	.end_amdhsa_kernel
	.section	.text._ZN9rocsparseL19bsrsv_lower_generalILj128ELj64ELb0E21rocsparse_complex_numIfEEEviNS_24const_host_device_scalarIT2_EEPKiS7_PKS4_iS9_PS4_PiSB_SB_21rocsparse_index_base_20rocsparse_diag_type_20rocsparse_direction_b,"axG",@progbits,_ZN9rocsparseL19bsrsv_lower_generalILj128ELj64ELb0E21rocsparse_complex_numIfEEEviNS_24const_host_device_scalarIT2_EEPKiS7_PKS4_iS9_PS4_PiSB_SB_21rocsparse_index_base_20rocsparse_diag_type_20rocsparse_direction_b,comdat
.Lfunc_end62:
	.size	_ZN9rocsparseL19bsrsv_lower_generalILj128ELj64ELb0E21rocsparse_complex_numIfEEEviNS_24const_host_device_scalarIT2_EEPKiS7_PKS4_iS9_PS4_PiSB_SB_21rocsparse_index_base_20rocsparse_diag_type_20rocsparse_direction_b, .Lfunc_end62-_ZN9rocsparseL19bsrsv_lower_generalILj128ELj64ELb0E21rocsparse_complex_numIfEEEviNS_24const_host_device_scalarIT2_EEPKiS7_PKS4_iS9_PS4_PiSB_SB_21rocsparse_index_base_20rocsparse_diag_type_20rocsparse_direction_b
                                        ; -- End function
	.set _ZN9rocsparseL19bsrsv_lower_generalILj128ELj64ELb0E21rocsparse_complex_numIfEEEviNS_24const_host_device_scalarIT2_EEPKiS7_PKS4_iS9_PS4_PiSB_SB_21rocsparse_index_base_20rocsparse_diag_type_20rocsparse_direction_b.num_vgpr, 21
	.set _ZN9rocsparseL19bsrsv_lower_generalILj128ELj64ELb0E21rocsparse_complex_numIfEEEviNS_24const_host_device_scalarIT2_EEPKiS7_PKS4_iS9_PS4_PiSB_SB_21rocsparse_index_base_20rocsparse_diag_type_20rocsparse_direction_b.num_agpr, 0
	.set _ZN9rocsparseL19bsrsv_lower_generalILj128ELj64ELb0E21rocsparse_complex_numIfEEEviNS_24const_host_device_scalarIT2_EEPKiS7_PKS4_iS9_PS4_PiSB_SB_21rocsparse_index_base_20rocsparse_diag_type_20rocsparse_direction_b.numbered_sgpr, 35
	.set _ZN9rocsparseL19bsrsv_lower_generalILj128ELj64ELb0E21rocsparse_complex_numIfEEEviNS_24const_host_device_scalarIT2_EEPKiS7_PKS4_iS9_PS4_PiSB_SB_21rocsparse_index_base_20rocsparse_diag_type_20rocsparse_direction_b.num_named_barrier, 0
	.set _ZN9rocsparseL19bsrsv_lower_generalILj128ELj64ELb0E21rocsparse_complex_numIfEEEviNS_24const_host_device_scalarIT2_EEPKiS7_PKS4_iS9_PS4_PiSB_SB_21rocsparse_index_base_20rocsparse_diag_type_20rocsparse_direction_b.private_seg_size, 0
	.set _ZN9rocsparseL19bsrsv_lower_generalILj128ELj64ELb0E21rocsparse_complex_numIfEEEviNS_24const_host_device_scalarIT2_EEPKiS7_PKS4_iS9_PS4_PiSB_SB_21rocsparse_index_base_20rocsparse_diag_type_20rocsparse_direction_b.uses_vcc, 1
	.set _ZN9rocsparseL19bsrsv_lower_generalILj128ELj64ELb0E21rocsparse_complex_numIfEEEviNS_24const_host_device_scalarIT2_EEPKiS7_PKS4_iS9_PS4_PiSB_SB_21rocsparse_index_base_20rocsparse_diag_type_20rocsparse_direction_b.uses_flat_scratch, 0
	.set _ZN9rocsparseL19bsrsv_lower_generalILj128ELj64ELb0E21rocsparse_complex_numIfEEEviNS_24const_host_device_scalarIT2_EEPKiS7_PKS4_iS9_PS4_PiSB_SB_21rocsparse_index_base_20rocsparse_diag_type_20rocsparse_direction_b.has_dyn_sized_stack, 0
	.set _ZN9rocsparseL19bsrsv_lower_generalILj128ELj64ELb0E21rocsparse_complex_numIfEEEviNS_24const_host_device_scalarIT2_EEPKiS7_PKS4_iS9_PS4_PiSB_SB_21rocsparse_index_base_20rocsparse_diag_type_20rocsparse_direction_b.has_recursion, 0
	.set _ZN9rocsparseL19bsrsv_lower_generalILj128ELj64ELb0E21rocsparse_complex_numIfEEEviNS_24const_host_device_scalarIT2_EEPKiS7_PKS4_iS9_PS4_PiSB_SB_21rocsparse_index_base_20rocsparse_diag_type_20rocsparse_direction_b.has_indirect_call, 0
	.section	.AMDGPU.csdata,"",@progbits
; Kernel info:
; codeLenInByte = 1704
; TotalNumSgprs: 39
; NumVgprs: 21
; ScratchSize: 0
; MemoryBound: 0
; FloatMode: 240
; IeeeMode: 1
; LDSByteSize: 0 bytes/workgroup (compile time only)
; SGPRBlocks: 4
; VGPRBlocks: 5
; NumSGPRsForWavesPerEU: 39
; NumVGPRsForWavesPerEU: 21
; Occupancy: 10
; WaveLimiterHint : 1
; COMPUTE_PGM_RSRC2:SCRATCH_EN: 0
; COMPUTE_PGM_RSRC2:USER_SGPR: 6
; COMPUTE_PGM_RSRC2:TRAP_HANDLER: 0
; COMPUTE_PGM_RSRC2:TGID_X_EN: 1
; COMPUTE_PGM_RSRC2:TGID_Y_EN: 0
; COMPUTE_PGM_RSRC2:TGID_Z_EN: 0
; COMPUTE_PGM_RSRC2:TIDIG_COMP_CNT: 0
	.section	.text._ZN9rocsparseL19bsrsv_upper_generalILj128ELj64ELb1E21rocsparse_complex_numIfEEEviNS_24const_host_device_scalarIT2_EEPKiS7_PKS4_iS9_PS4_PiSB_SB_21rocsparse_index_base_20rocsparse_diag_type_20rocsparse_direction_b,"axG",@progbits,_ZN9rocsparseL19bsrsv_upper_generalILj128ELj64ELb1E21rocsparse_complex_numIfEEEviNS_24const_host_device_scalarIT2_EEPKiS7_PKS4_iS9_PS4_PiSB_SB_21rocsparse_index_base_20rocsparse_diag_type_20rocsparse_direction_b,comdat
	.globl	_ZN9rocsparseL19bsrsv_upper_generalILj128ELj64ELb1E21rocsparse_complex_numIfEEEviNS_24const_host_device_scalarIT2_EEPKiS7_PKS4_iS9_PS4_PiSB_SB_21rocsparse_index_base_20rocsparse_diag_type_20rocsparse_direction_b ; -- Begin function _ZN9rocsparseL19bsrsv_upper_generalILj128ELj64ELb1E21rocsparse_complex_numIfEEEviNS_24const_host_device_scalarIT2_EEPKiS7_PKS4_iS9_PS4_PiSB_SB_21rocsparse_index_base_20rocsparse_diag_type_20rocsparse_direction_b
	.p2align	8
	.type	_ZN9rocsparseL19bsrsv_upper_generalILj128ELj64ELb1E21rocsparse_complex_numIfEEEviNS_24const_host_device_scalarIT2_EEPKiS7_PKS4_iS9_PS4_PiSB_SB_21rocsparse_index_base_20rocsparse_diag_type_20rocsparse_direction_b,@function
_ZN9rocsparseL19bsrsv_upper_generalILj128ELj64ELb1E21rocsparse_complex_numIfEEEviNS_24const_host_device_scalarIT2_EEPKiS7_PKS4_iS9_PS4_PiSB_SB_21rocsparse_index_base_20rocsparse_diag_type_20rocsparse_direction_b: ; @_ZN9rocsparseL19bsrsv_upper_generalILj128ELj64ELb1E21rocsparse_complex_numIfEEEviNS_24const_host_device_scalarIT2_EEPKiS7_PKS4_iS9_PS4_PiSB_SB_21rocsparse_index_base_20rocsparse_diag_type_20rocsparse_direction_b
; %bb.0:
	s_load_dwordx4 s[16:19], s[4:5], 0x58
	s_load_dwordx2 s[20:21], s[4:5], 0x8
	s_waitcnt lgkmcnt(0)
	s_bitcmp1_b32 s19, 0
	s_cselect_b64 s[2:3], -1, 0
	s_xor_b64 s[0:1], s[2:3], -1
	s_and_b64 vcc, exec, s[2:3]
	s_mov_b32 s19, s20
	s_cbranch_vccnz .LBB63_2
; %bb.1:
	s_load_dword s19, s[20:21], 0x0
.LBB63_2:
	s_andn2_b64 vcc, exec, s[0:1]
	s_cbranch_vccnz .LBB63_4
; %bb.3:
	s_load_dword s21, s[20:21], 0x4
.LBB63_4:
	s_nop 0
	s_load_dword s20, s[4:5], 0x0
	s_lshl_b32 s0, s6, 1
	v_lshrrev_b32_e32 v1, 6, v0
	s_and_b32 s0, s0, 0x3fffffe
	v_or_b32_e32 v1, s0, v1
	s_waitcnt lgkmcnt(0)
	v_cmp_gt_i32_e32 vcc, s20, v1
	s_and_saveexec_b64 s[0:1], vcc
	s_cbranch_execz .LBB63_49
; %bb.5:
	s_load_dwordx8 s[8:15], s[4:5], 0x38
	v_lshlrev_b32_e32 v1, 2, v1
	s_load_dword s33, s[4:5], 0x28
	v_and_b32_e32 v0, 63, v0
	s_waitcnt lgkmcnt(0)
	global_load_dword v1, v1, s[12:13]
	s_load_dwordx4 s[0:3], s[4:5], 0x10
	s_load_dwordx2 s[6:7], s[4:5], 0x20
	s_waitcnt lgkmcnt(0)
	v_mov_b32_e32 v5, s1
	s_waitcnt vmcnt(0)
	v_ashrrev_i32_e32 v2, 31, v1
	v_lshlrev_b64 v[2:3], 2, v[1:2]
	v_add_co_u32_e32 v4, vcc, s0, v2
	v_addc_co_u32_e32 v5, vcc, v5, v3, vcc
	global_load_dwordx2 v[4:5], v[4:5], off
	v_cmp_gt_i32_e64 s[0:1], s33, v0
	s_and_saveexec_b64 s[12:13], s[0:1]
	s_cbranch_execz .LBB63_8
; %bb.6:
	v_mad_u64_u32 v[6:7], s[22:23], v1, s33, v[0:1]
	s_load_dwordx2 s[4:5], s[4:5], 0x30
	v_mov_b32_e32 v10, s9
	v_ashrrev_i32_e32 v7, 31, v6
	v_lshlrev_b64 v[8:9], 3, v[6:7]
	s_waitcnt lgkmcnt(0)
	v_mov_b32_e32 v7, s5
	v_or_b32_e32 v8, 4, v8
	v_add_co_u32_e32 v6, vcc, s4, v8
	v_addc_co_u32_e32 v7, vcc, v7, v9, vcc
	v_add_co_u32_e32 v8, vcc, s8, v8
	v_addc_co_u32_e32 v9, vcc, v10, v9, vcc
	s_mov_b64 s[4:5], 0
	v_mov_b32_e32 v10, v0
.LBB63_7:                               ; =>This Inner Loop Header: Depth=1
	global_load_dwordx2 v[11:12], v[6:7], off offset:-4
	v_add_co_u32_e32 v6, vcc, 0x200, v6
	v_add_u32_e32 v10, 64, v10
	v_addc_co_u32_e32 v7, vcc, 0, v7, vcc
	v_cmp_le_i32_e32 vcc, s33, v10
	s_or_b64 s[4:5], vcc, s[4:5]
	s_waitcnt vmcnt(0)
	v_mul_f32_e64 v13, v12, -s21
	v_mul_f32_e32 v14, s19, v12
	v_fmac_f32_e32 v13, s19, v11
	v_fmac_f32_e32 v14, s21, v11
	global_store_dwordx2 v[8:9], v[13:14], off offset:-4
	v_add_co_u32_e32 v8, vcc, 0x200, v8
	v_addc_co_u32_e32 v9, vcc, 0, v9, vcc
	s_andn2_b64 exec, exec, s[4:5]
	s_cbranch_execnz .LBB63_7
.LBB63_8:
	s_or_b64 exec, exec, s[12:13]
	v_mul_lo_u32 v10, v1, s33
	s_waitcnt vmcnt(0)
	v_subrev_u32_e32 v9, s16, v4
	v_xad_u32 v4, s16, -1, v5
	v_cmp_ge_i32_e32 vcc, v4, v9
	v_mov_b32_e32 v5, s20
	s_and_saveexec_b64 s[4:5], vcc
	s_cbranch_execz .LBB63_28
; %bb.9:
	v_mad_u64_u32 v[5:6], s[12:13], s33, v4, v[0:1]
	s_cmp_lg_u32 s18, 0
	s_cselect_b64 s[12:13], -1, 0
	v_mul_lo_u32 v11, s33, v5
	s_mul_i32 s19, s33, s33
	s_lshl_b32 s34, s33, 6
	s_mov_b64 s[20:21], 0
	v_mov_b32_e32 v12, s3
                                        ; implicit-def: $sgpr22_sgpr23
	s_branch .LBB63_12
.LBB63_10:                              ;   in Loop: Header=BB63_12 Depth=1
	s_or_b64 exec, exec, s[26:27]
	v_cmp_le_i32_e32 vcc, v4, v9
	v_add_u32_e32 v6, -1, v4
	s_andn2_b64 s[22:23], s[22:23], exec
	s_and_b64 s[26:27], vcc, exec
	v_subrev_u32_e32 v11, s19, v11
	s_or_b64 s[22:23], s[22:23], s[26:27]
	v_mov_b32_e32 v4, v6
.LBB63_11:                              ;   in Loop: Header=BB63_12 Depth=1
	s_or_b64 exec, exec, s[24:25]
	s_and_b64 s[24:25], exec, s[22:23]
	s_or_b64 s[20:21], s[24:25], s[20:21]
	s_andn2_b64 exec, exec, s[20:21]
	s_cbranch_execz .LBB63_27
.LBB63_12:                              ; =>This Loop Header: Depth=1
                                        ;     Child Loop BB63_16 Depth 2
                                        ;       Child Loop BB63_17 Depth 3
                                        ;     Child Loop BB63_21 Depth 2
                                        ;       Child Loop BB63_23 Depth 3
	v_ashrrev_i32_e32 v5, 31, v4
	v_lshlrev_b64 v[5:6], 2, v[4:5]
	s_or_b64 s[22:23], s[22:23], exec
	v_add_co_u32_e32 v5, vcc, s2, v5
	v_addc_co_u32_e32 v6, vcc, v12, v6, vcc
	global_load_dword v5, v[5:6], off
	s_waitcnt vmcnt(0)
	v_subrev_u32_e32 v5, s16, v5
	v_cmp_gt_i32_e32 vcc, v5, v1
	s_and_saveexec_b64 s[24:25], vcc
	s_cbranch_execz .LBB63_11
; %bb.13:                               ;   in Loop: Header=BB63_12 Depth=1
	v_ashrrev_i32_e32 v6, 31, v5
	v_lshlrev_b64 v[6:7], 2, v[5:6]
	v_mov_b32_e32 v8, s11
	v_add_co_u32_e32 v6, vcc, s10, v6
	v_addc_co_u32_e32 v7, vcc, v8, v7, vcc
	global_load_dword v8, v[6:7], off glc
	s_waitcnt vmcnt(0)
	v_cmp_eq_u32_e32 vcc, 0, v8
	s_and_saveexec_b64 s[26:27], vcc
	s_cbranch_execz .LBB63_18
; %bb.14:                               ;   in Loop: Header=BB63_12 Depth=1
	s_mov_b32 s3, 0
	s_mov_b64 s[28:29], 0
	s_branch .LBB63_16
.LBB63_15:                              ;   in Loop: Header=BB63_16 Depth=2
	global_load_dword v8, v[6:7], off glc
	s_cmpk_lt_u32 s3, 0xf43
	s_cselect_b64 s[30:31], -1, 0
	s_cmp_lg_u64 s[30:31], 0
	s_addc_u32 s3, s3, 0
	s_waitcnt vmcnt(0)
	v_cmp_ne_u32_e32 vcc, 0, v8
	s_or_b64 s[28:29], vcc, s[28:29]
	s_andn2_b64 exec, exec, s[28:29]
	s_cbranch_execz .LBB63_18
.LBB63_16:                              ;   Parent Loop BB63_12 Depth=1
                                        ; =>  This Loop Header: Depth=2
                                        ;       Child Loop BB63_17 Depth 3
	s_cmp_eq_u32 s3, 0
	s_mov_b32 s30, s3
	s_cbranch_scc1 .LBB63_15
.LBB63_17:                              ;   Parent Loop BB63_12 Depth=1
                                        ;     Parent Loop BB63_16 Depth=2
                                        ; =>    This Inner Loop Header: Depth=3
	s_add_i32 s30, s30, -1
	s_cmp_eq_u32 s30, 0
	s_sleep 1
	s_cbranch_scc0 .LBB63_17
	s_branch .LBB63_15
.LBB63_18:                              ;   in Loop: Header=BB63_12 Depth=1
	s_or_b64 exec, exec, s[26:27]
	buffer_wbinvl1_vol
	s_and_saveexec_b64 s[26:27], s[0:1]
	s_cbranch_execz .LBB63_10
; %bb.19:                               ;   in Loop: Header=BB63_12 Depth=1
	v_mul_lo_u32 v13, v4, s33
	v_mul_lo_u32 v14, v5, s33
	s_mov_b64 s[28:29], 0
	v_mov_b32_e32 v15, v11
	v_mov_b32_e32 v6, v0
	s_branch .LBB63_21
.LBB63_20:                              ;   in Loop: Header=BB63_21 Depth=2
	v_add_u32_e32 v7, v6, v10
	v_ashrrev_i32_e32 v8, 31, v7
	v_lshlrev_b64 v[7:8], 3, v[7:8]
	v_mov_b32_e32 v18, s9
	v_add_co_u32_e32 v7, vcc, s8, v7
	v_addc_co_u32_e32 v8, vcc, v18, v8, vcc
	global_load_dwordx2 v[18:19], v[7:8], off
	v_add_u32_e32 v6, 64, v6
	v_cmp_le_i32_e32 vcc, s33, v6
	s_or_b64 s[28:29], vcc, s[28:29]
	v_add_u32_e32 v15, s34, v15
	s_waitcnt vmcnt(0)
	v_sub_f32_e32 v17, v18, v17
	v_sub_f32_e32 v18, v19, v16
	global_store_dwordx2 v[7:8], v[17:18], off
	s_andn2_b64 exec, exec, s[28:29]
	s_cbranch_execz .LBB63_10
.LBB63_21:                              ;   Parent Loop BB63_12 Depth=1
                                        ; =>  This Loop Header: Depth=2
                                        ;       Child Loop BB63_23 Depth 3
	v_mov_b32_e32 v16, 0
	s_mov_b32 s3, 0
	v_mov_b32_e32 v17, 0
	s_branch .LBB63_23
.LBB63_22:                              ;   in Loop: Header=BB63_23 Depth=3
	v_ashrrev_i32_e32 v8, 31, v7
	v_lshlrev_b64 v[7:8], 3, v[7:8]
	v_mov_b32_e32 v18, s7
	v_add_co_u32_e32 v7, vcc, s6, v7
	v_addc_co_u32_e32 v8, vcc, v18, v8, vcc
	v_add_u32_e32 v18, s3, v14
	v_ashrrev_i32_e32 v19, 31, v18
	v_lshlrev_b64 v[18:19], 3, v[18:19]
	v_mov_b32_e32 v20, s9
	v_add_co_u32_e32 v18, vcc, s8, v18
	v_addc_co_u32_e32 v19, vcc, v20, v19, vcc
	global_load_dwordx2 v[7:8], v[7:8], off
	s_add_i32 s3, s3, 1
	global_load_dwordx2 v[18:19], v[18:19], off
	s_cmp_eq_u32 s33, s3
	s_waitcnt vmcnt(0)
	v_fmac_f32_e32 v17, v7, v18
	v_fmac_f32_e32 v16, v8, v18
	v_fma_f32 v17, -v8, v19, v17
	v_fmac_f32_e32 v16, v7, v19
	s_cbranch_scc1 .LBB63_20
.LBB63_23:                              ;   Parent Loop BB63_12 Depth=1
                                        ;     Parent Loop BB63_21 Depth=2
                                        ; =>    This Inner Loop Header: Depth=3
	s_and_b64 vcc, exec, s[12:13]
	s_cbranch_vccz .LBB63_25
; %bb.24:                               ;   in Loop: Header=BB63_23 Depth=3
	v_add_u32_e32 v7, s3, v13
	v_mad_u64_u32 v[7:8], s[30:31], v7, s33, v[6:7]
	s_cbranch_execnz .LBB63_22
	s_branch .LBB63_26
.LBB63_25:                              ;   in Loop: Header=BB63_23 Depth=3
                                        ; implicit-def: $vgpr7
.LBB63_26:                              ;   in Loop: Header=BB63_23 Depth=3
	v_add_u32_e32 v7, s3, v15
	s_branch .LBB63_22
.LBB63_27:
	s_or_b64 exec, exec, s[20:21]
.LBB63_28:
	s_or_b64 exec, exec, s[4:5]
	s_cmp_gt_i32 s33, 0
	v_cmp_eq_u32_e32 vcc, v5, v1
	s_cselect_b64 s[0:1], -1, 0
	s_and_b64 s[2:3], s[0:1], vcc
	s_mov_b64 s[0:1], 0
	s_and_saveexec_b64 s[4:5], s[2:3]
	s_cbranch_execz .LBB63_43
; %bb.29:
	v_mul_lo_u32 v11, v4, s33
	s_cmp_eq_u32 s17, 0
	s_cselect_b64 s[0:1], -1, 0
	s_cmp_lg_u32 s18, 0
	v_add_u32_e32 v4, v11, v0
	v_mul_lo_u32 v4, s33, v4
	v_ashrrev_i32_e32 v12, 31, v10
	s_cselect_b64 s[12:13], -1, 0
	s_lshl_b32 s17, s33, 6
	v_add3_u32 v13, v4, s33, -1
	v_cndmask_b32_e64 v4, 0, 1, s[0:1]
	s_mov_b64 s[20:21], 0
	v_cmp_ne_u32_e64 s[0:1], 1, v4
	v_mov_b32_e32 v14, s9
                                        ; implicit-def: $sgpr18_sgpr19
	s_mov_b32 s22, s33
	s_and_b64 vcc, exec, s[0:1]
	s_add_i32 s23, s22, -1
	s_cbranch_vccz .LBB63_31
.LBB63_30:
	v_mov_b32_e32 v7, 0
	v_mov_b32_e32 v6, 1.0
	s_branch .LBB63_32
.LBB63_31:
	s_waitcnt vmcnt(0)
	v_add_u32_e32 v4, s23, v11
	v_mul_lo_u32 v4, v4, s33
	v_mov_b32_e32 v6, s7
	v_add_u32_e32 v4, s23, v4
	v_ashrrev_i32_e32 v5, 31, v4
	v_lshlrev_b64 v[4:5], 3, v[4:5]
	v_add_co_u32_e32 v4, vcc, s6, v4
	v_addc_co_u32_e32 v5, vcc, v6, v5, vcc
	global_load_dwordx2 v[6:7], v[4:5], off
.LBB63_32:
	s_ashr_i32 s2, s22, 31
	s_waitcnt vmcnt(0)
	v_mov_b32_e32 v5, s2
	v_add_co_u32_e32 v4, vcc, s22, v10
	v_addc_co_u32_e32 v5, vcc, v5, v12, vcc
	v_lshlrev_b64 v[4:5], 3, v[4:5]
	s_waitcnt vmcnt(0)
	v_cmp_neq_f32_e64 s[2:3], 0, v7
	v_add_co_u32_e32 v8, vcc, s8, v4
	v_addc_co_u32_e32 v9, vcc, v14, v5, vcc
	global_load_dwordx2 v[4:5], v[8:9], off offset:-8
	v_cmp_neq_f32_e32 vcc, 0, v6
	s_or_b64 s[24:25], vcc, s[2:3]
	s_or_b64 s[18:19], s[18:19], exec
	s_and_saveexec_b64 s[2:3], s[24:25]
	s_cbranch_execz .LBB63_34
; %bb.33:
	v_mul_f32_e32 v15, v7, v7
	v_fmac_f32_e32 v15, v6, v6
	v_div_scale_f32 v16, s[24:25], v15, v15, 1.0
	v_div_scale_f32 v17, vcc, 1.0, v15, 1.0
	s_andn2_b64 s[18:19], s[18:19], exec
	s_and_b64 s[20:21], s[20:21], exec
	s_or_b64 s[18:19], s[18:19], s[20:21]
	v_rcp_f32_e32 v18, v16
	v_fma_f32 v19, -v16, v18, 1.0
	v_fmac_f32_e32 v18, v19, v18
	v_mul_f32_e32 v19, v17, v18
	v_fma_f32 v20, -v16, v19, v17
	v_fmac_f32_e32 v19, v20, v18
	v_fma_f32 v16, -v16, v19, v17
	v_div_fmas_f32 v16, v16, v18, v19
	s_waitcnt vmcnt(0)
	v_mul_f32_e32 v17, v7, v5
	v_mul_f32_e64 v7, v7, -v4
	v_fmac_f32_e32 v17, v4, v6
	v_fmac_f32_e32 v7, v5, v6
	v_div_fixup_f32 v5, v16, v15, 1.0
	v_mul_f32_e32 v4, v5, v17
	v_mul_f32_e32 v5, v5, v7
	global_store_dwordx2 v[8:9], v[4:5], off offset:-8
.LBB63_34:
	s_or_b64 exec, exec, s[2:3]
	v_cmp_gt_i32_e32 vcc, s23, v0
	s_and_saveexec_b64 s[2:3], vcc
	s_cbranch_execz .LBB63_39
; %bb.35:
	v_add_u32_e32 v6, s23, v11
	v_mul_lo_u32 v8, v6, s33
	s_mov_b64 s[20:21], 0
	v_mov_b32_e32 v9, v13
	v_mov_b32_e32 v15, v0
	s_branch .LBB63_37
.LBB63_36:                              ;   in Loop: Header=BB63_37 Depth=1
	v_ashrrev_i32_e32 v7, 31, v6
	v_lshlrev_b64 v[6:7], 3, v[6:7]
	v_mov_b32_e32 v16, s7
	v_add_co_u32_e32 v6, vcc, s6, v6
	v_addc_co_u32_e32 v7, vcc, v16, v7, vcc
	v_add_u32_e32 v16, v10, v15
	v_ashrrev_i32_e32 v17, 31, v16
	v_lshlrev_b64 v[16:17], 3, v[16:17]
	global_load_dwordx2 v[6:7], v[6:7], off
	v_mov_b32_e32 v18, s9
	v_add_co_u32_e32 v16, vcc, s8, v16
	v_addc_co_u32_e32 v17, vcc, v18, v17, vcc
	global_load_dwordx2 v[18:19], v[16:17], off
	v_add_u32_e32 v15, 64, v15
	v_cmp_le_i32_e32 vcc, s23, v15
	s_or_b64 s[20:21], vcc, s[20:21]
	v_add_u32_e32 v9, s17, v9
	s_waitcnt vmcnt(1)
	v_mul_f32_e64 v20, v7, -v5
	v_mul_f32_e32 v7, v4, v7
	v_fmac_f32_e32 v20, v4, v6
	v_fmac_f32_e32 v7, v5, v6
	s_waitcnt vmcnt(0)
	v_sub_f32_e32 v6, v18, v20
	v_sub_f32_e32 v7, v19, v7
	global_store_dwordx2 v[16:17], v[6:7], off
	s_andn2_b64 exec, exec, s[20:21]
	s_cbranch_execz .LBB63_39
.LBB63_37:                              ; =>This Inner Loop Header: Depth=1
	s_andn2_b64 vcc, exec, s[12:13]
	v_mov_b32_e32 v6, v9
	s_cbranch_vccnz .LBB63_36
; %bb.38:                               ;   in Loop: Header=BB63_37 Depth=1
	v_add_u32_e32 v6, v15, v8
	s_branch .LBB63_36
.LBB63_39:
	s_or_b64 exec, exec, s[2:3]
; %bb.40:
	s_cmp_lt_i32 s22, 2
	v_add_u32_e32 v13, -1, v13
	s_cbranch_scc1 .LBB63_42
; %bb.41:
	s_mov_b64 s[20:21], s[18:19]
	s_mov_b32 s22, s23
	s_and_b64 vcc, exec, s[0:1]
	s_add_i32 s23, s22, -1
	s_cbranch_vccnz .LBB63_30
	s_branch .LBB63_31
.LBB63_42:
	s_and_b64 s[0:1], s[18:19], exec
.LBB63_43:
	s_or_b64 exec, exec, s[4:5]
	v_cmp_eq_u32_e32 vcc, 0, v0
	s_and_b64 exec, exec, vcc
	s_cbranch_execz .LBB63_49
; %bb.44:
	v_mov_b32_e32 v0, s11
	v_add_co_u32_e32 v2, vcc, s10, v2
	v_addc_co_u32_e32 v3, vcc, v0, v3, vcc
	v_mov_b32_e32 v0, 1
	s_waitcnt vmcnt(0)
	global_store_dword v[2:3], v0, off
	s_and_b64 exec, exec, s[0:1]
	s_cbranch_execz .LBB63_49
; %bb.45:
	s_mov_b64 s[0:1], exec
	v_add_u32_e32 v0, s16, v1
	s_brev_b32 s2, -2
.LBB63_46:                              ; =>This Inner Loop Header: Depth=1
	s_ff1_i32_b64 s3, s[0:1]
	v_readlane_b32 s6, v0, s3
	s_lshl_b64 s[4:5], 1, s3
	s_min_i32 s2, s2, s6
	s_andn2_b64 s[0:1], s[0:1], s[4:5]
	s_cmp_lg_u64 s[0:1], 0
	s_cbranch_scc1 .LBB63_46
; %bb.47:
	v_mbcnt_lo_u32_b32 v0, exec_lo, 0
	v_mbcnt_hi_u32_b32 v0, exec_hi, v0
	v_cmp_eq_u32_e32 vcc, 0, v0
	s_and_saveexec_b64 s[0:1], vcc
	s_xor_b64 s[0:1], exec, s[0:1]
	s_cbranch_execz .LBB63_49
; %bb.48:
	v_mov_b32_e32 v0, 0
	v_mov_b32_e32 v1, s2
	global_atomic_smin v0, v1, s[14:15]
.LBB63_49:
	s_endpgm
	.section	.rodata,"a",@progbits
	.p2align	6, 0x0
	.amdhsa_kernel _ZN9rocsparseL19bsrsv_upper_generalILj128ELj64ELb1E21rocsparse_complex_numIfEEEviNS_24const_host_device_scalarIT2_EEPKiS7_PKS4_iS9_PS4_PiSB_SB_21rocsparse_index_base_20rocsparse_diag_type_20rocsparse_direction_b
		.amdhsa_group_segment_fixed_size 0
		.amdhsa_private_segment_fixed_size 0
		.amdhsa_kernarg_size 104
		.amdhsa_user_sgpr_count 6
		.amdhsa_user_sgpr_private_segment_buffer 1
		.amdhsa_user_sgpr_dispatch_ptr 0
		.amdhsa_user_sgpr_queue_ptr 0
		.amdhsa_user_sgpr_kernarg_segment_ptr 1
		.amdhsa_user_sgpr_dispatch_id 0
		.amdhsa_user_sgpr_flat_scratch_init 0
		.amdhsa_user_sgpr_private_segment_size 0
		.amdhsa_uses_dynamic_stack 0
		.amdhsa_system_sgpr_private_segment_wavefront_offset 0
		.amdhsa_system_sgpr_workgroup_id_x 1
		.amdhsa_system_sgpr_workgroup_id_y 0
		.amdhsa_system_sgpr_workgroup_id_z 0
		.amdhsa_system_sgpr_workgroup_info 0
		.amdhsa_system_vgpr_workitem_id 0
		.amdhsa_next_free_vgpr 21
		.amdhsa_next_free_sgpr 35
		.amdhsa_reserve_vcc 1
		.amdhsa_reserve_flat_scratch 0
		.amdhsa_float_round_mode_32 0
		.amdhsa_float_round_mode_16_64 0
		.amdhsa_float_denorm_mode_32 3
		.amdhsa_float_denorm_mode_16_64 3
		.amdhsa_dx10_clamp 1
		.amdhsa_ieee_mode 1
		.amdhsa_fp16_overflow 0
		.amdhsa_exception_fp_ieee_invalid_op 0
		.amdhsa_exception_fp_denorm_src 0
		.amdhsa_exception_fp_ieee_div_zero 0
		.amdhsa_exception_fp_ieee_overflow 0
		.amdhsa_exception_fp_ieee_underflow 0
		.amdhsa_exception_fp_ieee_inexact 0
		.amdhsa_exception_int_div_zero 0
	.end_amdhsa_kernel
	.section	.text._ZN9rocsparseL19bsrsv_upper_generalILj128ELj64ELb1E21rocsparse_complex_numIfEEEviNS_24const_host_device_scalarIT2_EEPKiS7_PKS4_iS9_PS4_PiSB_SB_21rocsparse_index_base_20rocsparse_diag_type_20rocsparse_direction_b,"axG",@progbits,_ZN9rocsparseL19bsrsv_upper_generalILj128ELj64ELb1E21rocsparse_complex_numIfEEEviNS_24const_host_device_scalarIT2_EEPKiS7_PKS4_iS9_PS4_PiSB_SB_21rocsparse_index_base_20rocsparse_diag_type_20rocsparse_direction_b,comdat
.Lfunc_end63:
	.size	_ZN9rocsparseL19bsrsv_upper_generalILj128ELj64ELb1E21rocsparse_complex_numIfEEEviNS_24const_host_device_scalarIT2_EEPKiS7_PKS4_iS9_PS4_PiSB_SB_21rocsparse_index_base_20rocsparse_diag_type_20rocsparse_direction_b, .Lfunc_end63-_ZN9rocsparseL19bsrsv_upper_generalILj128ELj64ELb1E21rocsparse_complex_numIfEEEviNS_24const_host_device_scalarIT2_EEPKiS7_PKS4_iS9_PS4_PiSB_SB_21rocsparse_index_base_20rocsparse_diag_type_20rocsparse_direction_b
                                        ; -- End function
	.set _ZN9rocsparseL19bsrsv_upper_generalILj128ELj64ELb1E21rocsparse_complex_numIfEEEviNS_24const_host_device_scalarIT2_EEPKiS7_PKS4_iS9_PS4_PiSB_SB_21rocsparse_index_base_20rocsparse_diag_type_20rocsparse_direction_b.num_vgpr, 21
	.set _ZN9rocsparseL19bsrsv_upper_generalILj128ELj64ELb1E21rocsparse_complex_numIfEEEviNS_24const_host_device_scalarIT2_EEPKiS7_PKS4_iS9_PS4_PiSB_SB_21rocsparse_index_base_20rocsparse_diag_type_20rocsparse_direction_b.num_agpr, 0
	.set _ZN9rocsparseL19bsrsv_upper_generalILj128ELj64ELb1E21rocsparse_complex_numIfEEEviNS_24const_host_device_scalarIT2_EEPKiS7_PKS4_iS9_PS4_PiSB_SB_21rocsparse_index_base_20rocsparse_diag_type_20rocsparse_direction_b.numbered_sgpr, 35
	.set _ZN9rocsparseL19bsrsv_upper_generalILj128ELj64ELb1E21rocsparse_complex_numIfEEEviNS_24const_host_device_scalarIT2_EEPKiS7_PKS4_iS9_PS4_PiSB_SB_21rocsparse_index_base_20rocsparse_diag_type_20rocsparse_direction_b.num_named_barrier, 0
	.set _ZN9rocsparseL19bsrsv_upper_generalILj128ELj64ELb1E21rocsparse_complex_numIfEEEviNS_24const_host_device_scalarIT2_EEPKiS7_PKS4_iS9_PS4_PiSB_SB_21rocsparse_index_base_20rocsparse_diag_type_20rocsparse_direction_b.private_seg_size, 0
	.set _ZN9rocsparseL19bsrsv_upper_generalILj128ELj64ELb1E21rocsparse_complex_numIfEEEviNS_24const_host_device_scalarIT2_EEPKiS7_PKS4_iS9_PS4_PiSB_SB_21rocsparse_index_base_20rocsparse_diag_type_20rocsparse_direction_b.uses_vcc, 1
	.set _ZN9rocsparseL19bsrsv_upper_generalILj128ELj64ELb1E21rocsparse_complex_numIfEEEviNS_24const_host_device_scalarIT2_EEPKiS7_PKS4_iS9_PS4_PiSB_SB_21rocsparse_index_base_20rocsparse_diag_type_20rocsparse_direction_b.uses_flat_scratch, 0
	.set _ZN9rocsparseL19bsrsv_upper_generalILj128ELj64ELb1E21rocsparse_complex_numIfEEEviNS_24const_host_device_scalarIT2_EEPKiS7_PKS4_iS9_PS4_PiSB_SB_21rocsparse_index_base_20rocsparse_diag_type_20rocsparse_direction_b.has_dyn_sized_stack, 0
	.set _ZN9rocsparseL19bsrsv_upper_generalILj128ELj64ELb1E21rocsparse_complex_numIfEEEviNS_24const_host_device_scalarIT2_EEPKiS7_PKS4_iS9_PS4_PiSB_SB_21rocsparse_index_base_20rocsparse_diag_type_20rocsparse_direction_b.has_recursion, 0
	.set _ZN9rocsparseL19bsrsv_upper_generalILj128ELj64ELb1E21rocsparse_complex_numIfEEEviNS_24const_host_device_scalarIT2_EEPKiS7_PKS4_iS9_PS4_PiSB_SB_21rocsparse_index_base_20rocsparse_diag_type_20rocsparse_direction_b.has_indirect_call, 0
	.section	.AMDGPU.csdata,"",@progbits
; Kernel info:
; codeLenInByte = 1784
; TotalNumSgprs: 39
; NumVgprs: 21
; ScratchSize: 0
; MemoryBound: 0
; FloatMode: 240
; IeeeMode: 1
; LDSByteSize: 0 bytes/workgroup (compile time only)
; SGPRBlocks: 4
; VGPRBlocks: 5
; NumSGPRsForWavesPerEU: 39
; NumVGPRsForWavesPerEU: 21
; Occupancy: 10
; WaveLimiterHint : 1
; COMPUTE_PGM_RSRC2:SCRATCH_EN: 0
; COMPUTE_PGM_RSRC2:USER_SGPR: 6
; COMPUTE_PGM_RSRC2:TRAP_HANDLER: 0
; COMPUTE_PGM_RSRC2:TGID_X_EN: 1
; COMPUTE_PGM_RSRC2:TGID_Y_EN: 0
; COMPUTE_PGM_RSRC2:TGID_Z_EN: 0
; COMPUTE_PGM_RSRC2:TIDIG_COMP_CNT: 0
	.section	.text._ZN9rocsparseL19bsrsv_upper_generalILj128ELj64ELb0E21rocsparse_complex_numIfEEEviNS_24const_host_device_scalarIT2_EEPKiS7_PKS4_iS9_PS4_PiSB_SB_21rocsparse_index_base_20rocsparse_diag_type_20rocsparse_direction_b,"axG",@progbits,_ZN9rocsparseL19bsrsv_upper_generalILj128ELj64ELb0E21rocsparse_complex_numIfEEEviNS_24const_host_device_scalarIT2_EEPKiS7_PKS4_iS9_PS4_PiSB_SB_21rocsparse_index_base_20rocsparse_diag_type_20rocsparse_direction_b,comdat
	.globl	_ZN9rocsparseL19bsrsv_upper_generalILj128ELj64ELb0E21rocsparse_complex_numIfEEEviNS_24const_host_device_scalarIT2_EEPKiS7_PKS4_iS9_PS4_PiSB_SB_21rocsparse_index_base_20rocsparse_diag_type_20rocsparse_direction_b ; -- Begin function _ZN9rocsparseL19bsrsv_upper_generalILj128ELj64ELb0E21rocsparse_complex_numIfEEEviNS_24const_host_device_scalarIT2_EEPKiS7_PKS4_iS9_PS4_PiSB_SB_21rocsparse_index_base_20rocsparse_diag_type_20rocsparse_direction_b
	.p2align	8
	.type	_ZN9rocsparseL19bsrsv_upper_generalILj128ELj64ELb0E21rocsparse_complex_numIfEEEviNS_24const_host_device_scalarIT2_EEPKiS7_PKS4_iS9_PS4_PiSB_SB_21rocsparse_index_base_20rocsparse_diag_type_20rocsparse_direction_b,@function
_ZN9rocsparseL19bsrsv_upper_generalILj128ELj64ELb0E21rocsparse_complex_numIfEEEviNS_24const_host_device_scalarIT2_EEPKiS7_PKS4_iS9_PS4_PiSB_SB_21rocsparse_index_base_20rocsparse_diag_type_20rocsparse_direction_b: ; @_ZN9rocsparseL19bsrsv_upper_generalILj128ELj64ELb0E21rocsparse_complex_numIfEEEviNS_24const_host_device_scalarIT2_EEPKiS7_PKS4_iS9_PS4_PiSB_SB_21rocsparse_index_base_20rocsparse_diag_type_20rocsparse_direction_b
; %bb.0:
	s_load_dwordx4 s[16:19], s[4:5], 0x58
	s_load_dwordx2 s[20:21], s[4:5], 0x8
	s_waitcnt lgkmcnt(0)
	s_bitcmp1_b32 s19, 0
	s_cselect_b64 s[2:3], -1, 0
	s_xor_b64 s[0:1], s[2:3], -1
	s_and_b64 vcc, exec, s[2:3]
	s_mov_b32 s19, s20
	s_cbranch_vccnz .LBB64_2
; %bb.1:
	s_load_dword s19, s[20:21], 0x0
.LBB64_2:
	s_andn2_b64 vcc, exec, s[0:1]
	s_cbranch_vccnz .LBB64_4
; %bb.3:
	s_load_dword s21, s[20:21], 0x4
.LBB64_4:
	s_nop 0
	s_load_dword s20, s[4:5], 0x0
	s_lshl_b32 s0, s6, 1
	v_lshrrev_b32_e32 v1, 6, v0
	s_and_b32 s0, s0, 0x3fffffe
	v_or_b32_e32 v1, s0, v1
	s_waitcnt lgkmcnt(0)
	v_cmp_gt_i32_e32 vcc, s20, v1
	s_and_saveexec_b64 s[0:1], vcc
	s_cbranch_execz .LBB64_47
; %bb.5:
	s_load_dwordx8 s[8:15], s[4:5], 0x38
	v_lshlrev_b32_e32 v1, 2, v1
	s_load_dword s33, s[4:5], 0x28
	v_and_b32_e32 v0, 63, v0
	s_waitcnt lgkmcnt(0)
	global_load_dword v1, v1, s[12:13]
	s_load_dwordx4 s[0:3], s[4:5], 0x10
	s_load_dwordx2 s[6:7], s[4:5], 0x20
	s_waitcnt lgkmcnt(0)
	v_mov_b32_e32 v5, s1
	s_waitcnt vmcnt(0)
	v_ashrrev_i32_e32 v2, 31, v1
	v_lshlrev_b64 v[2:3], 2, v[1:2]
	v_add_co_u32_e32 v4, vcc, s0, v2
	v_addc_co_u32_e32 v5, vcc, v5, v3, vcc
	global_load_dwordx2 v[4:5], v[4:5], off
	v_cmp_gt_i32_e64 s[0:1], s33, v0
	s_and_saveexec_b64 s[12:13], s[0:1]
	s_cbranch_execz .LBB64_8
; %bb.6:
	v_mad_u64_u32 v[6:7], s[22:23], v1, s33, v[0:1]
	s_load_dwordx2 s[4:5], s[4:5], 0x30
	v_mov_b32_e32 v10, s9
	v_ashrrev_i32_e32 v7, 31, v6
	v_lshlrev_b64 v[8:9], 3, v[6:7]
	s_waitcnt lgkmcnt(0)
	v_mov_b32_e32 v7, s5
	v_or_b32_e32 v8, 4, v8
	v_add_co_u32_e32 v6, vcc, s4, v8
	v_addc_co_u32_e32 v7, vcc, v7, v9, vcc
	v_add_co_u32_e32 v8, vcc, s8, v8
	v_addc_co_u32_e32 v9, vcc, v10, v9, vcc
	s_mov_b64 s[4:5], 0
	v_mov_b32_e32 v10, v0
.LBB64_7:                               ; =>This Inner Loop Header: Depth=1
	global_load_dwordx2 v[11:12], v[6:7], off offset:-4
	v_add_co_u32_e32 v6, vcc, 0x200, v6
	v_add_u32_e32 v10, 64, v10
	v_addc_co_u32_e32 v7, vcc, 0, v7, vcc
	v_cmp_le_i32_e32 vcc, s33, v10
	s_or_b64 s[4:5], vcc, s[4:5]
	s_waitcnt vmcnt(0)
	v_mul_f32_e64 v13, v12, -s21
	v_mul_f32_e32 v14, s19, v12
	v_fmac_f32_e32 v13, s19, v11
	v_fmac_f32_e32 v14, s21, v11
	global_store_dwordx2 v[8:9], v[13:14], off offset:-4
	v_add_co_u32_e32 v8, vcc, 0x200, v8
	v_addc_co_u32_e32 v9, vcc, 0, v9, vcc
	s_andn2_b64 exec, exec, s[4:5]
	s_cbranch_execnz .LBB64_7
.LBB64_8:
	s_or_b64 exec, exec, s[12:13]
	v_mul_lo_u32 v10, v1, s33
	s_waitcnt vmcnt(0)
	v_subrev_u32_e32 v9, s16, v4
	v_xad_u32 v4, s16, -1, v5
	v_cmp_ge_i32_e32 vcc, v4, v9
	v_mov_b32_e32 v5, s20
	s_and_saveexec_b64 s[4:5], vcc
	s_cbranch_execz .LBB64_26
; %bb.9:
	v_mad_u64_u32 v[5:6], s[12:13], s33, v4, v[0:1]
	s_cmp_lg_u32 s18, 0
	s_cselect_b64 s[12:13], -1, 0
	v_mul_lo_u32 v11, s33, v5
	s_mul_i32 s19, s33, s33
	s_lshl_b32 s34, s33, 6
	s_mov_b64 s[20:21], 0
	v_mov_b32_e32 v12, s3
                                        ; implicit-def: $sgpr22_sgpr23
	s_branch .LBB64_12
.LBB64_10:                              ;   in Loop: Header=BB64_12 Depth=1
	s_or_b64 exec, exec, s[26:27]
	v_cmp_le_i32_e32 vcc, v4, v9
	v_add_u32_e32 v6, -1, v4
	s_andn2_b64 s[22:23], s[22:23], exec
	s_and_b64 s[26:27], vcc, exec
	v_subrev_u32_e32 v11, s19, v11
	s_or_b64 s[22:23], s[22:23], s[26:27]
	v_mov_b32_e32 v4, v6
.LBB64_11:                              ;   in Loop: Header=BB64_12 Depth=1
	s_or_b64 exec, exec, s[24:25]
	s_and_b64 s[24:25], exec, s[22:23]
	s_or_b64 s[20:21], s[24:25], s[20:21]
	s_andn2_b64 exec, exec, s[20:21]
	s_cbranch_execz .LBB64_25
.LBB64_12:                              ; =>This Loop Header: Depth=1
                                        ;     Child Loop BB64_15 Depth 2
                                        ;     Child Loop BB64_19 Depth 2
                                        ;       Child Loop BB64_21 Depth 3
	v_ashrrev_i32_e32 v5, 31, v4
	v_lshlrev_b64 v[5:6], 2, v[4:5]
	s_or_b64 s[22:23], s[22:23], exec
	v_add_co_u32_e32 v5, vcc, s2, v5
	v_addc_co_u32_e32 v6, vcc, v12, v6, vcc
	global_load_dword v5, v[5:6], off
	s_waitcnt vmcnt(0)
	v_subrev_u32_e32 v5, s16, v5
	v_cmp_gt_i32_e32 vcc, v5, v1
	s_and_saveexec_b64 s[24:25], vcc
	s_cbranch_execz .LBB64_11
; %bb.13:                               ;   in Loop: Header=BB64_12 Depth=1
	v_ashrrev_i32_e32 v6, 31, v5
	v_lshlrev_b64 v[6:7], 2, v[5:6]
	v_mov_b32_e32 v8, s11
	v_add_co_u32_e32 v6, vcc, s10, v6
	v_addc_co_u32_e32 v7, vcc, v8, v7, vcc
	global_load_dword v8, v[6:7], off glc
	s_waitcnt vmcnt(0)
	v_cmp_eq_u32_e32 vcc, 0, v8
	s_and_saveexec_b64 s[26:27], vcc
	s_cbranch_execz .LBB64_16
; %bb.14:                               ;   in Loop: Header=BB64_12 Depth=1
	s_mov_b64 s[28:29], 0
.LBB64_15:                              ;   Parent Loop BB64_12 Depth=1
                                        ; =>  This Inner Loop Header: Depth=2
	global_load_dword v8, v[6:7], off glc
	s_waitcnt vmcnt(0)
	v_cmp_ne_u32_e32 vcc, 0, v8
	s_or_b64 s[28:29], vcc, s[28:29]
	s_andn2_b64 exec, exec, s[28:29]
	s_cbranch_execnz .LBB64_15
.LBB64_16:                              ;   in Loop: Header=BB64_12 Depth=1
	s_or_b64 exec, exec, s[26:27]
	buffer_wbinvl1_vol
	s_and_saveexec_b64 s[26:27], s[0:1]
	s_cbranch_execz .LBB64_10
; %bb.17:                               ;   in Loop: Header=BB64_12 Depth=1
	v_mul_lo_u32 v13, v4, s33
	v_mul_lo_u32 v14, v5, s33
	s_mov_b64 s[28:29], 0
	v_mov_b32_e32 v15, v11
	v_mov_b32_e32 v6, v0
	s_branch .LBB64_19
.LBB64_18:                              ;   in Loop: Header=BB64_19 Depth=2
	v_add_u32_e32 v7, v6, v10
	v_ashrrev_i32_e32 v8, 31, v7
	v_lshlrev_b64 v[7:8], 3, v[7:8]
	v_mov_b32_e32 v18, s9
	v_add_co_u32_e32 v7, vcc, s8, v7
	v_addc_co_u32_e32 v8, vcc, v18, v8, vcc
	global_load_dwordx2 v[18:19], v[7:8], off
	v_add_u32_e32 v6, 64, v6
	v_cmp_le_i32_e32 vcc, s33, v6
	s_or_b64 s[28:29], vcc, s[28:29]
	v_add_u32_e32 v15, s34, v15
	s_waitcnt vmcnt(0)
	v_sub_f32_e32 v17, v18, v17
	v_sub_f32_e32 v18, v19, v16
	global_store_dwordx2 v[7:8], v[17:18], off
	s_andn2_b64 exec, exec, s[28:29]
	s_cbranch_execz .LBB64_10
.LBB64_19:                              ;   Parent Loop BB64_12 Depth=1
                                        ; =>  This Loop Header: Depth=2
                                        ;       Child Loop BB64_21 Depth 3
	v_mov_b32_e32 v16, 0
	s_mov_b32 s3, 0
	v_mov_b32_e32 v17, 0
	s_branch .LBB64_21
.LBB64_20:                              ;   in Loop: Header=BB64_21 Depth=3
	v_ashrrev_i32_e32 v8, 31, v7
	v_lshlrev_b64 v[7:8], 3, v[7:8]
	v_mov_b32_e32 v18, s7
	v_add_co_u32_e32 v7, vcc, s6, v7
	v_addc_co_u32_e32 v8, vcc, v18, v8, vcc
	v_add_u32_e32 v18, s3, v14
	v_ashrrev_i32_e32 v19, 31, v18
	v_lshlrev_b64 v[18:19], 3, v[18:19]
	v_mov_b32_e32 v20, s9
	v_add_co_u32_e32 v18, vcc, s8, v18
	v_addc_co_u32_e32 v19, vcc, v20, v19, vcc
	global_load_dwordx2 v[7:8], v[7:8], off
	s_add_i32 s3, s3, 1
	global_load_dwordx2 v[18:19], v[18:19], off
	s_cmp_eq_u32 s33, s3
	s_waitcnt vmcnt(0)
	v_fmac_f32_e32 v17, v7, v18
	v_fmac_f32_e32 v16, v8, v18
	v_fma_f32 v17, -v8, v19, v17
	v_fmac_f32_e32 v16, v7, v19
	s_cbranch_scc1 .LBB64_18
.LBB64_21:                              ;   Parent Loop BB64_12 Depth=1
                                        ;     Parent Loop BB64_19 Depth=2
                                        ; =>    This Inner Loop Header: Depth=3
	s_and_b64 vcc, exec, s[12:13]
	s_cbranch_vccz .LBB64_23
; %bb.22:                               ;   in Loop: Header=BB64_21 Depth=3
	v_add_u32_e32 v7, s3, v13
	v_mad_u64_u32 v[7:8], s[30:31], v7, s33, v[6:7]
	s_cbranch_execnz .LBB64_20
	s_branch .LBB64_24
.LBB64_23:                              ;   in Loop: Header=BB64_21 Depth=3
                                        ; implicit-def: $vgpr7
.LBB64_24:                              ;   in Loop: Header=BB64_21 Depth=3
	v_add_u32_e32 v7, s3, v15
	s_branch .LBB64_20
.LBB64_25:
	s_or_b64 exec, exec, s[20:21]
.LBB64_26:
	s_or_b64 exec, exec, s[4:5]
	s_cmp_gt_i32 s33, 0
	v_cmp_eq_u32_e32 vcc, v5, v1
	s_cselect_b64 s[0:1], -1, 0
	s_and_b64 s[2:3], s[0:1], vcc
	s_mov_b64 s[0:1], 0
	s_and_saveexec_b64 s[4:5], s[2:3]
	s_cbranch_execz .LBB64_41
; %bb.27:
	v_mul_lo_u32 v11, v4, s33
	s_cmp_eq_u32 s17, 0
	s_cselect_b64 s[0:1], -1, 0
	s_cmp_lg_u32 s18, 0
	v_add_u32_e32 v4, v11, v0
	v_mul_lo_u32 v4, s33, v4
	v_ashrrev_i32_e32 v12, 31, v10
	s_cselect_b64 s[12:13], -1, 0
	s_lshl_b32 s17, s33, 6
	v_add3_u32 v13, v4, s33, -1
	v_cndmask_b32_e64 v4, 0, 1, s[0:1]
	s_mov_b64 s[20:21], 0
	v_cmp_ne_u32_e64 s[0:1], 1, v4
	v_mov_b32_e32 v14, s9
                                        ; implicit-def: $sgpr18_sgpr19
	s_mov_b32 s22, s33
	s_and_b64 vcc, exec, s[0:1]
	s_add_i32 s23, s22, -1
	s_cbranch_vccz .LBB64_29
.LBB64_28:
	v_mov_b32_e32 v7, 0
	v_mov_b32_e32 v6, 1.0
	s_branch .LBB64_30
.LBB64_29:
	s_waitcnt vmcnt(0)
	v_add_u32_e32 v4, s23, v11
	v_mul_lo_u32 v4, v4, s33
	v_mov_b32_e32 v6, s7
	v_add_u32_e32 v4, s23, v4
	v_ashrrev_i32_e32 v5, 31, v4
	v_lshlrev_b64 v[4:5], 3, v[4:5]
	v_add_co_u32_e32 v4, vcc, s6, v4
	v_addc_co_u32_e32 v5, vcc, v6, v5, vcc
	global_load_dwordx2 v[6:7], v[4:5], off
.LBB64_30:
	s_ashr_i32 s2, s22, 31
	s_waitcnt vmcnt(0)
	v_mov_b32_e32 v5, s2
	v_add_co_u32_e32 v4, vcc, s22, v10
	v_addc_co_u32_e32 v5, vcc, v5, v12, vcc
	v_lshlrev_b64 v[4:5], 3, v[4:5]
	s_waitcnt vmcnt(0)
	v_cmp_neq_f32_e64 s[2:3], 0, v7
	v_add_co_u32_e32 v8, vcc, s8, v4
	v_addc_co_u32_e32 v9, vcc, v14, v5, vcc
	global_load_dwordx2 v[4:5], v[8:9], off offset:-8
	v_cmp_neq_f32_e32 vcc, 0, v6
	s_or_b64 s[24:25], vcc, s[2:3]
	s_or_b64 s[18:19], s[18:19], exec
	s_and_saveexec_b64 s[2:3], s[24:25]
	s_cbranch_execz .LBB64_32
; %bb.31:
	v_mul_f32_e32 v15, v7, v7
	v_fmac_f32_e32 v15, v6, v6
	v_div_scale_f32 v16, s[24:25], v15, v15, 1.0
	v_div_scale_f32 v17, vcc, 1.0, v15, 1.0
	s_andn2_b64 s[18:19], s[18:19], exec
	s_and_b64 s[20:21], s[20:21], exec
	s_or_b64 s[18:19], s[18:19], s[20:21]
	v_rcp_f32_e32 v18, v16
	v_fma_f32 v19, -v16, v18, 1.0
	v_fmac_f32_e32 v18, v19, v18
	v_mul_f32_e32 v19, v17, v18
	v_fma_f32 v20, -v16, v19, v17
	v_fmac_f32_e32 v19, v20, v18
	v_fma_f32 v16, -v16, v19, v17
	v_div_fmas_f32 v16, v16, v18, v19
	s_waitcnt vmcnt(0)
	v_mul_f32_e32 v17, v7, v5
	v_mul_f32_e64 v7, v7, -v4
	v_fmac_f32_e32 v17, v4, v6
	v_fmac_f32_e32 v7, v5, v6
	v_div_fixup_f32 v5, v16, v15, 1.0
	v_mul_f32_e32 v4, v5, v17
	v_mul_f32_e32 v5, v5, v7
	global_store_dwordx2 v[8:9], v[4:5], off offset:-8
.LBB64_32:
	s_or_b64 exec, exec, s[2:3]
	v_cmp_gt_i32_e32 vcc, s23, v0
	s_and_saveexec_b64 s[2:3], vcc
	s_cbranch_execz .LBB64_37
; %bb.33:
	v_add_u32_e32 v6, s23, v11
	v_mul_lo_u32 v8, v6, s33
	s_mov_b64 s[20:21], 0
	v_mov_b32_e32 v9, v13
	v_mov_b32_e32 v15, v0
	s_branch .LBB64_35
.LBB64_34:                              ;   in Loop: Header=BB64_35 Depth=1
	v_ashrrev_i32_e32 v7, 31, v6
	v_lshlrev_b64 v[6:7], 3, v[6:7]
	v_mov_b32_e32 v16, s7
	v_add_co_u32_e32 v6, vcc, s6, v6
	v_addc_co_u32_e32 v7, vcc, v16, v7, vcc
	v_add_u32_e32 v16, v10, v15
	v_ashrrev_i32_e32 v17, 31, v16
	v_lshlrev_b64 v[16:17], 3, v[16:17]
	global_load_dwordx2 v[6:7], v[6:7], off
	v_mov_b32_e32 v18, s9
	v_add_co_u32_e32 v16, vcc, s8, v16
	v_addc_co_u32_e32 v17, vcc, v18, v17, vcc
	global_load_dwordx2 v[18:19], v[16:17], off
	v_add_u32_e32 v15, 64, v15
	v_cmp_le_i32_e32 vcc, s23, v15
	s_or_b64 s[20:21], vcc, s[20:21]
	v_add_u32_e32 v9, s17, v9
	s_waitcnt vmcnt(1)
	v_mul_f32_e64 v20, v7, -v5
	v_mul_f32_e32 v7, v4, v7
	v_fmac_f32_e32 v20, v4, v6
	v_fmac_f32_e32 v7, v5, v6
	s_waitcnt vmcnt(0)
	v_sub_f32_e32 v6, v18, v20
	v_sub_f32_e32 v7, v19, v7
	global_store_dwordx2 v[16:17], v[6:7], off
	s_andn2_b64 exec, exec, s[20:21]
	s_cbranch_execz .LBB64_37
.LBB64_35:                              ; =>This Inner Loop Header: Depth=1
	s_andn2_b64 vcc, exec, s[12:13]
	v_mov_b32_e32 v6, v9
	s_cbranch_vccnz .LBB64_34
; %bb.36:                               ;   in Loop: Header=BB64_35 Depth=1
	v_add_u32_e32 v6, v15, v8
	s_branch .LBB64_34
.LBB64_37:
	s_or_b64 exec, exec, s[2:3]
; %bb.38:
	s_cmp_lt_i32 s22, 2
	v_add_u32_e32 v13, -1, v13
	s_cbranch_scc1 .LBB64_40
; %bb.39:
	s_mov_b64 s[20:21], s[18:19]
	s_mov_b32 s22, s23
	s_and_b64 vcc, exec, s[0:1]
	s_add_i32 s23, s22, -1
	s_cbranch_vccnz .LBB64_28
	s_branch .LBB64_29
.LBB64_40:
	s_and_b64 s[0:1], s[18:19], exec
.LBB64_41:
	s_or_b64 exec, exec, s[4:5]
	v_cmp_eq_u32_e32 vcc, 0, v0
	s_and_b64 exec, exec, vcc
	s_cbranch_execz .LBB64_47
; %bb.42:
	v_mov_b32_e32 v0, s11
	v_add_co_u32_e32 v2, vcc, s10, v2
	v_addc_co_u32_e32 v3, vcc, v0, v3, vcc
	v_mov_b32_e32 v0, 1
	s_waitcnt vmcnt(0)
	global_store_dword v[2:3], v0, off
	s_and_b64 exec, exec, s[0:1]
	s_cbranch_execz .LBB64_47
; %bb.43:
	s_mov_b64 s[0:1], exec
	v_add_u32_e32 v0, s16, v1
	s_brev_b32 s2, -2
.LBB64_44:                              ; =>This Inner Loop Header: Depth=1
	s_ff1_i32_b64 s3, s[0:1]
	v_readlane_b32 s6, v0, s3
	s_lshl_b64 s[4:5], 1, s3
	s_min_i32 s2, s2, s6
	s_andn2_b64 s[0:1], s[0:1], s[4:5]
	s_cmp_lg_u64 s[0:1], 0
	s_cbranch_scc1 .LBB64_44
; %bb.45:
	v_mbcnt_lo_u32_b32 v0, exec_lo, 0
	v_mbcnt_hi_u32_b32 v0, exec_hi, v0
	v_cmp_eq_u32_e32 vcc, 0, v0
	s_and_saveexec_b64 s[0:1], vcc
	s_xor_b64 s[0:1], exec, s[0:1]
	s_cbranch_execz .LBB64_47
; %bb.46:
	v_mov_b32_e32 v0, 0
	v_mov_b32_e32 v1, s2
	global_atomic_smin v0, v1, s[14:15]
.LBB64_47:
	s_endpgm
	.section	.rodata,"a",@progbits
	.p2align	6, 0x0
	.amdhsa_kernel _ZN9rocsparseL19bsrsv_upper_generalILj128ELj64ELb0E21rocsparse_complex_numIfEEEviNS_24const_host_device_scalarIT2_EEPKiS7_PKS4_iS9_PS4_PiSB_SB_21rocsparse_index_base_20rocsparse_diag_type_20rocsparse_direction_b
		.amdhsa_group_segment_fixed_size 0
		.amdhsa_private_segment_fixed_size 0
		.amdhsa_kernarg_size 104
		.amdhsa_user_sgpr_count 6
		.amdhsa_user_sgpr_private_segment_buffer 1
		.amdhsa_user_sgpr_dispatch_ptr 0
		.amdhsa_user_sgpr_queue_ptr 0
		.amdhsa_user_sgpr_kernarg_segment_ptr 1
		.amdhsa_user_sgpr_dispatch_id 0
		.amdhsa_user_sgpr_flat_scratch_init 0
		.amdhsa_user_sgpr_private_segment_size 0
		.amdhsa_uses_dynamic_stack 0
		.amdhsa_system_sgpr_private_segment_wavefront_offset 0
		.amdhsa_system_sgpr_workgroup_id_x 1
		.amdhsa_system_sgpr_workgroup_id_y 0
		.amdhsa_system_sgpr_workgroup_id_z 0
		.amdhsa_system_sgpr_workgroup_info 0
		.amdhsa_system_vgpr_workitem_id 0
		.amdhsa_next_free_vgpr 21
		.amdhsa_next_free_sgpr 35
		.amdhsa_reserve_vcc 1
		.amdhsa_reserve_flat_scratch 0
		.amdhsa_float_round_mode_32 0
		.amdhsa_float_round_mode_16_64 0
		.amdhsa_float_denorm_mode_32 3
		.amdhsa_float_denorm_mode_16_64 3
		.amdhsa_dx10_clamp 1
		.amdhsa_ieee_mode 1
		.amdhsa_fp16_overflow 0
		.amdhsa_exception_fp_ieee_invalid_op 0
		.amdhsa_exception_fp_denorm_src 0
		.amdhsa_exception_fp_ieee_div_zero 0
		.amdhsa_exception_fp_ieee_overflow 0
		.amdhsa_exception_fp_ieee_underflow 0
		.amdhsa_exception_fp_ieee_inexact 0
		.amdhsa_exception_int_div_zero 0
	.end_amdhsa_kernel
	.section	.text._ZN9rocsparseL19bsrsv_upper_generalILj128ELj64ELb0E21rocsparse_complex_numIfEEEviNS_24const_host_device_scalarIT2_EEPKiS7_PKS4_iS9_PS4_PiSB_SB_21rocsparse_index_base_20rocsparse_diag_type_20rocsparse_direction_b,"axG",@progbits,_ZN9rocsparseL19bsrsv_upper_generalILj128ELj64ELb0E21rocsparse_complex_numIfEEEviNS_24const_host_device_scalarIT2_EEPKiS7_PKS4_iS9_PS4_PiSB_SB_21rocsparse_index_base_20rocsparse_diag_type_20rocsparse_direction_b,comdat
.Lfunc_end64:
	.size	_ZN9rocsparseL19bsrsv_upper_generalILj128ELj64ELb0E21rocsparse_complex_numIfEEEviNS_24const_host_device_scalarIT2_EEPKiS7_PKS4_iS9_PS4_PiSB_SB_21rocsparse_index_base_20rocsparse_diag_type_20rocsparse_direction_b, .Lfunc_end64-_ZN9rocsparseL19bsrsv_upper_generalILj128ELj64ELb0E21rocsparse_complex_numIfEEEviNS_24const_host_device_scalarIT2_EEPKiS7_PKS4_iS9_PS4_PiSB_SB_21rocsparse_index_base_20rocsparse_diag_type_20rocsparse_direction_b
                                        ; -- End function
	.set _ZN9rocsparseL19bsrsv_upper_generalILj128ELj64ELb0E21rocsparse_complex_numIfEEEviNS_24const_host_device_scalarIT2_EEPKiS7_PKS4_iS9_PS4_PiSB_SB_21rocsparse_index_base_20rocsparse_diag_type_20rocsparse_direction_b.num_vgpr, 21
	.set _ZN9rocsparseL19bsrsv_upper_generalILj128ELj64ELb0E21rocsparse_complex_numIfEEEviNS_24const_host_device_scalarIT2_EEPKiS7_PKS4_iS9_PS4_PiSB_SB_21rocsparse_index_base_20rocsparse_diag_type_20rocsparse_direction_b.num_agpr, 0
	.set _ZN9rocsparseL19bsrsv_upper_generalILj128ELj64ELb0E21rocsparse_complex_numIfEEEviNS_24const_host_device_scalarIT2_EEPKiS7_PKS4_iS9_PS4_PiSB_SB_21rocsparse_index_base_20rocsparse_diag_type_20rocsparse_direction_b.numbered_sgpr, 35
	.set _ZN9rocsparseL19bsrsv_upper_generalILj128ELj64ELb0E21rocsparse_complex_numIfEEEviNS_24const_host_device_scalarIT2_EEPKiS7_PKS4_iS9_PS4_PiSB_SB_21rocsparse_index_base_20rocsparse_diag_type_20rocsparse_direction_b.num_named_barrier, 0
	.set _ZN9rocsparseL19bsrsv_upper_generalILj128ELj64ELb0E21rocsparse_complex_numIfEEEviNS_24const_host_device_scalarIT2_EEPKiS7_PKS4_iS9_PS4_PiSB_SB_21rocsparse_index_base_20rocsparse_diag_type_20rocsparse_direction_b.private_seg_size, 0
	.set _ZN9rocsparseL19bsrsv_upper_generalILj128ELj64ELb0E21rocsparse_complex_numIfEEEviNS_24const_host_device_scalarIT2_EEPKiS7_PKS4_iS9_PS4_PiSB_SB_21rocsparse_index_base_20rocsparse_diag_type_20rocsparse_direction_b.uses_vcc, 1
	.set _ZN9rocsparseL19bsrsv_upper_generalILj128ELj64ELb0E21rocsparse_complex_numIfEEEviNS_24const_host_device_scalarIT2_EEPKiS7_PKS4_iS9_PS4_PiSB_SB_21rocsparse_index_base_20rocsparse_diag_type_20rocsparse_direction_b.uses_flat_scratch, 0
	.set _ZN9rocsparseL19bsrsv_upper_generalILj128ELj64ELb0E21rocsparse_complex_numIfEEEviNS_24const_host_device_scalarIT2_EEPKiS7_PKS4_iS9_PS4_PiSB_SB_21rocsparse_index_base_20rocsparse_diag_type_20rocsparse_direction_b.has_dyn_sized_stack, 0
	.set _ZN9rocsparseL19bsrsv_upper_generalILj128ELj64ELb0E21rocsparse_complex_numIfEEEviNS_24const_host_device_scalarIT2_EEPKiS7_PKS4_iS9_PS4_PiSB_SB_21rocsparse_index_base_20rocsparse_diag_type_20rocsparse_direction_b.has_recursion, 0
	.set _ZN9rocsparseL19bsrsv_upper_generalILj128ELj64ELb0E21rocsparse_complex_numIfEEEviNS_24const_host_device_scalarIT2_EEPKiS7_PKS4_iS9_PS4_PiSB_SB_21rocsparse_index_base_20rocsparse_diag_type_20rocsparse_direction_b.has_indirect_call, 0
	.section	.AMDGPU.csdata,"",@progbits
; Kernel info:
; codeLenInByte = 1728
; TotalNumSgprs: 39
; NumVgprs: 21
; ScratchSize: 0
; MemoryBound: 0
; FloatMode: 240
; IeeeMode: 1
; LDSByteSize: 0 bytes/workgroup (compile time only)
; SGPRBlocks: 4
; VGPRBlocks: 5
; NumSGPRsForWavesPerEU: 39
; NumVGPRsForWavesPerEU: 21
; Occupancy: 10
; WaveLimiterHint : 1
; COMPUTE_PGM_RSRC2:SCRATCH_EN: 0
; COMPUTE_PGM_RSRC2:USER_SGPR: 6
; COMPUTE_PGM_RSRC2:TRAP_HANDLER: 0
; COMPUTE_PGM_RSRC2:TGID_X_EN: 1
; COMPUTE_PGM_RSRC2:TGID_Y_EN: 0
; COMPUTE_PGM_RSRC2:TGID_Z_EN: 0
; COMPUTE_PGM_RSRC2:TIDIG_COMP_CNT: 0
	.section	.text._ZN9rocsparseL19bsrsv_lower_generalILj128ELj32ELb1E21rocsparse_complex_numIfEEEviNS_24const_host_device_scalarIT2_EEPKiS7_PKS4_iS9_PS4_PiSB_SB_21rocsparse_index_base_20rocsparse_diag_type_20rocsparse_direction_b,"axG",@progbits,_ZN9rocsparseL19bsrsv_lower_generalILj128ELj32ELb1E21rocsparse_complex_numIfEEEviNS_24const_host_device_scalarIT2_EEPKiS7_PKS4_iS9_PS4_PiSB_SB_21rocsparse_index_base_20rocsparse_diag_type_20rocsparse_direction_b,comdat
	.globl	_ZN9rocsparseL19bsrsv_lower_generalILj128ELj32ELb1E21rocsparse_complex_numIfEEEviNS_24const_host_device_scalarIT2_EEPKiS7_PKS4_iS9_PS4_PiSB_SB_21rocsparse_index_base_20rocsparse_diag_type_20rocsparse_direction_b ; -- Begin function _ZN9rocsparseL19bsrsv_lower_generalILj128ELj32ELb1E21rocsparse_complex_numIfEEEviNS_24const_host_device_scalarIT2_EEPKiS7_PKS4_iS9_PS4_PiSB_SB_21rocsparse_index_base_20rocsparse_diag_type_20rocsparse_direction_b
	.p2align	8
	.type	_ZN9rocsparseL19bsrsv_lower_generalILj128ELj32ELb1E21rocsparse_complex_numIfEEEviNS_24const_host_device_scalarIT2_EEPKiS7_PKS4_iS9_PS4_PiSB_SB_21rocsparse_index_base_20rocsparse_diag_type_20rocsparse_direction_b,@function
_ZN9rocsparseL19bsrsv_lower_generalILj128ELj32ELb1E21rocsparse_complex_numIfEEEviNS_24const_host_device_scalarIT2_EEPKiS7_PKS4_iS9_PS4_PiSB_SB_21rocsparse_index_base_20rocsparse_diag_type_20rocsparse_direction_b: ; @_ZN9rocsparseL19bsrsv_lower_generalILj128ELj32ELb1E21rocsparse_complex_numIfEEEviNS_24const_host_device_scalarIT2_EEPKiS7_PKS4_iS9_PS4_PiSB_SB_21rocsparse_index_base_20rocsparse_diag_type_20rocsparse_direction_b
; %bb.0:
	s_load_dwordx4 s[16:19], s[4:5], 0x58
	s_load_dwordx2 s[20:21], s[4:5], 0x8
	s_waitcnt lgkmcnt(0)
	s_bitcmp1_b32 s19, 0
	s_cselect_b64 s[2:3], -1, 0
	s_xor_b64 s[0:1], s[2:3], -1
	s_and_b64 vcc, exec, s[2:3]
	s_mov_b32 s19, s20
	s_cbranch_vccnz .LBB65_2
; %bb.1:
	s_load_dword s19, s[20:21], 0x0
.LBB65_2:
	s_andn2_b64 vcc, exec, s[0:1]
	s_cbranch_vccnz .LBB65_4
; %bb.3:
	s_load_dword s21, s[20:21], 0x4
.LBB65_4:
	s_nop 0
	s_load_dword s20, s[4:5], 0x0
	s_lshl_b32 s0, s6, 2
	v_lshrrev_b32_e32 v1, 5, v0
	s_and_b32 s0, s0, 0x7fffffc
	v_or_b32_e32 v1, s0, v1
	s_waitcnt lgkmcnt(0)
	v_cmp_gt_i32_e32 vcc, s20, v1
	s_and_saveexec_b64 s[0:1], vcc
	s_cbranch_execz .LBB65_48
; %bb.5:
	s_load_dwordx8 s[8:15], s[4:5], 0x38
	v_lshlrev_b32_e32 v1, 2, v1
	s_load_dword s33, s[4:5], 0x28
	v_and_b32_e32 v0, 31, v0
	s_waitcnt lgkmcnt(0)
	global_load_dword v1, v1, s[12:13]
	s_load_dwordx4 s[0:3], s[4:5], 0x10
	s_load_dwordx2 s[6:7], s[4:5], 0x20
	s_waitcnt lgkmcnt(0)
	v_mov_b32_e32 v5, s1
	s_waitcnt vmcnt(0)
	v_ashrrev_i32_e32 v2, 31, v1
	v_lshlrev_b64 v[2:3], 2, v[1:2]
	v_add_co_u32_e32 v4, vcc, s0, v2
	v_addc_co_u32_e32 v5, vcc, v5, v3, vcc
	global_load_dwordx2 v[5:6], v[4:5], off
	v_cmp_gt_i32_e64 s[0:1], s33, v0
	s_and_saveexec_b64 s[12:13], s[0:1]
	s_cbranch_execz .LBB65_8
; %bb.6:
	v_mad_u64_u32 v[7:8], s[22:23], v1, s33, v[0:1]
	s_load_dwordx2 s[4:5], s[4:5], 0x30
	v_ashrrev_i32_e32 v8, 31, v7
	v_lshlrev_b64 v[9:10], 3, v[7:8]
	s_waitcnt lgkmcnt(0)
	v_mov_b32_e32 v4, s5
	v_or_b32_e32 v9, 4, v9
	v_add_co_u32_e32 v7, vcc, s4, v9
	v_addc_co_u32_e32 v8, vcc, v4, v10, vcc
	v_mov_b32_e32 v4, s9
	v_add_co_u32_e32 v9, vcc, s8, v9
	v_addc_co_u32_e32 v10, vcc, v4, v10, vcc
	s_mov_b64 s[4:5], 0
	v_mov_b32_e32 v4, v0
.LBB65_7:                               ; =>This Inner Loop Header: Depth=1
	global_load_dwordx2 v[11:12], v[7:8], off offset:-4
	v_add_co_u32_e32 v7, vcc, 0x100, v7
	v_add_u32_e32 v4, 32, v4
	v_addc_co_u32_e32 v8, vcc, 0, v8, vcc
	v_cmp_le_i32_e32 vcc, s33, v4
	s_or_b64 s[4:5], vcc, s[4:5]
	s_waitcnt vmcnt(0)
	v_mul_f32_e64 v13, v12, -s21
	v_mul_f32_e32 v14, s19, v12
	v_fmac_f32_e32 v13, s19, v11
	v_fmac_f32_e32 v14, s21, v11
	global_store_dwordx2 v[9:10], v[13:14], off offset:-4
	v_add_co_u32_e32 v9, vcc, 0x100, v9
	v_addc_co_u32_e32 v10, vcc, 0, v10, vcc
	s_andn2_b64 exec, exec, s[4:5]
	s_cbranch_execnz .LBB65_7
.LBB65_8:
	s_or_b64 exec, exec, s[12:13]
	v_mul_lo_u32 v10, v1, s33
	s_waitcnt vmcnt(0)
	v_subrev_u32_e32 v4, s16, v5
	v_cmp_lt_i32_e32 vcc, v5, v6
	v_mov_b32_e32 v5, s20
	s_and_saveexec_b64 s[4:5], vcc
	s_cbranch_execz .LBB65_28
; %bb.9:
	v_mad_u64_u32 v[7:8], s[12:13], s33, v4, v[0:1]
	s_cmp_lg_u32 s18, 0
	v_subrev_u32_e32 v9, s16, v6
	v_mul_lo_u32 v11, s33, v7
	s_cselect_b64 s[12:13], -1, 0
	s_mul_i32 s19, s33, s33
	s_lshl_b32 s34, s33, 5
	s_mov_b64 s[20:21], 0
	v_mov_b32_e32 v12, s3
                                        ; implicit-def: $sgpr22_sgpr23
	s_branch .LBB65_12
.LBB65_10:                              ;   in Loop: Header=BB65_12 Depth=1
	s_or_b64 exec, exec, s[26:27]
	v_add_u32_e32 v4, 1, v4
	v_cmp_ge_i32_e32 vcc, v4, v9
	s_andn2_b64 s[22:23], s[22:23], exec
	s_and_b64 s[26:27], vcc, exec
	v_add_u32_e32 v11, s19, v11
	s_or_b64 s[22:23], s[22:23], s[26:27]
.LBB65_11:                              ;   in Loop: Header=BB65_12 Depth=1
	s_or_b64 exec, exec, s[24:25]
	s_and_b64 s[24:25], exec, s[22:23]
	s_or_b64 s[20:21], s[24:25], s[20:21]
	s_andn2_b64 exec, exec, s[20:21]
	s_cbranch_execz .LBB65_27
.LBB65_12:                              ; =>This Loop Header: Depth=1
                                        ;     Child Loop BB65_16 Depth 2
                                        ;       Child Loop BB65_17 Depth 3
                                        ;     Child Loop BB65_21 Depth 2
                                        ;       Child Loop BB65_23 Depth 3
	v_ashrrev_i32_e32 v5, 31, v4
	v_lshlrev_b64 v[5:6], 2, v[4:5]
	s_or_b64 s[22:23], s[22:23], exec
	v_add_co_u32_e32 v5, vcc, s2, v5
	v_addc_co_u32_e32 v6, vcc, v12, v6, vcc
	global_load_dword v5, v[5:6], off
	s_waitcnt vmcnt(0)
	v_subrev_u32_e32 v5, s16, v5
	v_cmp_lt_i32_e32 vcc, v5, v1
	s_and_saveexec_b64 s[24:25], vcc
	s_cbranch_execz .LBB65_11
; %bb.13:                               ;   in Loop: Header=BB65_12 Depth=1
	v_ashrrev_i32_e32 v6, 31, v5
	v_lshlrev_b64 v[6:7], 2, v[5:6]
	v_mov_b32_e32 v8, s11
	v_add_co_u32_e32 v6, vcc, s10, v6
	v_addc_co_u32_e32 v7, vcc, v8, v7, vcc
	global_load_dword v8, v[6:7], off glc
	s_waitcnt vmcnt(0)
	v_cmp_eq_u32_e32 vcc, 0, v8
	s_and_saveexec_b64 s[26:27], vcc
	s_cbranch_execz .LBB65_18
; %bb.14:                               ;   in Loop: Header=BB65_12 Depth=1
	s_mov_b32 s3, 0
	s_mov_b64 s[28:29], 0
	s_branch .LBB65_16
.LBB65_15:                              ;   in Loop: Header=BB65_16 Depth=2
	global_load_dword v8, v[6:7], off glc
	s_cmpk_lt_u32 s3, 0xf43
	s_cselect_b64 s[30:31], -1, 0
	s_cmp_lg_u64 s[30:31], 0
	s_addc_u32 s3, s3, 0
	s_waitcnt vmcnt(0)
	v_cmp_ne_u32_e32 vcc, 0, v8
	s_or_b64 s[28:29], vcc, s[28:29]
	s_andn2_b64 exec, exec, s[28:29]
	s_cbranch_execz .LBB65_18
.LBB65_16:                              ;   Parent Loop BB65_12 Depth=1
                                        ; =>  This Loop Header: Depth=2
                                        ;       Child Loop BB65_17 Depth 3
	s_cmp_eq_u32 s3, 0
	s_mov_b32 s30, s3
	s_cbranch_scc1 .LBB65_15
.LBB65_17:                              ;   Parent Loop BB65_12 Depth=1
                                        ;     Parent Loop BB65_16 Depth=2
                                        ; =>    This Inner Loop Header: Depth=3
	s_add_i32 s30, s30, -1
	s_cmp_eq_u32 s30, 0
	s_sleep 1
	s_cbranch_scc0 .LBB65_17
	s_branch .LBB65_15
.LBB65_18:                              ;   in Loop: Header=BB65_12 Depth=1
	s_or_b64 exec, exec, s[26:27]
	buffer_wbinvl1_vol
	s_and_saveexec_b64 s[26:27], s[0:1]
	s_cbranch_execz .LBB65_10
; %bb.19:                               ;   in Loop: Header=BB65_12 Depth=1
	v_mul_lo_u32 v13, v4, s33
	v_mul_lo_u32 v14, v5, s33
	s_mov_b64 s[28:29], 0
	v_mov_b32_e32 v15, v11
	v_mov_b32_e32 v6, v0
	s_branch .LBB65_21
.LBB65_20:                              ;   in Loop: Header=BB65_21 Depth=2
	v_add_u32_e32 v7, v6, v10
	v_ashrrev_i32_e32 v8, 31, v7
	v_lshlrev_b64 v[7:8], 3, v[7:8]
	v_mov_b32_e32 v18, s9
	v_add_co_u32_e32 v7, vcc, s8, v7
	v_addc_co_u32_e32 v8, vcc, v18, v8, vcc
	global_load_dwordx2 v[18:19], v[7:8], off
	v_add_u32_e32 v6, 32, v6
	v_cmp_le_i32_e32 vcc, s33, v6
	s_or_b64 s[28:29], vcc, s[28:29]
	v_add_u32_e32 v15, s34, v15
	s_waitcnt vmcnt(0)
	v_sub_f32_e32 v17, v18, v17
	v_sub_f32_e32 v18, v19, v16
	global_store_dwordx2 v[7:8], v[17:18], off
	s_andn2_b64 exec, exec, s[28:29]
	s_cbranch_execz .LBB65_10
.LBB65_21:                              ;   Parent Loop BB65_12 Depth=1
                                        ; =>  This Loop Header: Depth=2
                                        ;       Child Loop BB65_23 Depth 3
	v_mov_b32_e32 v16, 0
	s_mov_b32 s3, 0
	v_mov_b32_e32 v17, 0
	s_branch .LBB65_23
.LBB65_22:                              ;   in Loop: Header=BB65_23 Depth=3
	v_ashrrev_i32_e32 v8, 31, v7
	v_lshlrev_b64 v[7:8], 3, v[7:8]
	v_mov_b32_e32 v18, s7
	v_add_co_u32_e32 v7, vcc, s6, v7
	v_addc_co_u32_e32 v8, vcc, v18, v8, vcc
	v_add_u32_e32 v18, s3, v14
	v_ashrrev_i32_e32 v19, 31, v18
	v_lshlrev_b64 v[18:19], 3, v[18:19]
	v_mov_b32_e32 v20, s9
	v_add_co_u32_e32 v18, vcc, s8, v18
	v_addc_co_u32_e32 v19, vcc, v20, v19, vcc
	global_load_dwordx2 v[7:8], v[7:8], off
	s_add_i32 s3, s3, 1
	global_load_dwordx2 v[18:19], v[18:19], off
	s_cmp_eq_u32 s33, s3
	s_waitcnt vmcnt(0)
	v_fmac_f32_e32 v17, v7, v18
	v_fmac_f32_e32 v16, v8, v18
	v_fma_f32 v17, -v8, v19, v17
	v_fmac_f32_e32 v16, v7, v19
	s_cbranch_scc1 .LBB65_20
.LBB65_23:                              ;   Parent Loop BB65_12 Depth=1
                                        ;     Parent Loop BB65_21 Depth=2
                                        ; =>    This Inner Loop Header: Depth=3
	s_and_b64 vcc, exec, s[12:13]
	s_cbranch_vccz .LBB65_25
; %bb.24:                               ;   in Loop: Header=BB65_23 Depth=3
	v_add_u32_e32 v7, s3, v13
	v_mad_u64_u32 v[7:8], s[30:31], v7, s33, v[6:7]
	s_cbranch_execnz .LBB65_22
	s_branch .LBB65_26
.LBB65_25:                              ;   in Loop: Header=BB65_23 Depth=3
                                        ; implicit-def: $vgpr7
.LBB65_26:                              ;   in Loop: Header=BB65_23 Depth=3
	v_add_u32_e32 v7, s3, v15
	s_branch .LBB65_22
.LBB65_27:
	s_or_b64 exec, exec, s[20:21]
.LBB65_28:
	s_or_b64 exec, exec, s[4:5]
	s_cmp_gt_i32 s33, 0
	v_cmp_eq_u32_e32 vcc, v5, v1
	s_cselect_b64 s[0:1], -1, 0
	s_mov_b32 s22, 0
	s_and_b64 s[2:3], s[0:1], vcc
	s_mov_b64 s[0:1], 0
	s_and_saveexec_b64 s[4:5], s[2:3]
	s_cbranch_execz .LBB65_42
; %bb.29:
	v_mul_lo_u32 v11, v4, s33
	s_cmp_eq_u32 s17, 0
	s_cselect_b64 s[0:1], -1, 0
	s_cmp_lg_u32 s18, 0
	v_add_u32_e32 v4, v11, v0
	v_mul_lo_u32 v4, s33, v4
	v_add_u32_e32 v12, 1, v0
	s_cselect_b64 s[12:13], -1, 0
	s_add_i32 s17, s33, 1
	v_add_u32_e32 v13, s33, v4
	v_cndmask_b32_e64 v4, 0, 1, s[0:1]
	s_lshl_b32 s23, s33, 5
	s_mov_b64 s[20:21], 0
	v_cmp_ne_u32_e64 s[0:1], 1, v4
	v_mov_b32_e32 v14, s9
                                        ; implicit-def: $sgpr18_sgpr19
	s_and_b64 vcc, exec, s[0:1]
	s_cbranch_vccz .LBB65_31
.LBB65_30:
	v_mov_b32_e32 v7, 0
	v_mov_b32_e32 v6, 1.0
	s_branch .LBB65_32
.LBB65_31:
	s_waitcnt vmcnt(0)
	v_add_u32_e32 v4, s22, v11
	v_mul_lo_u32 v4, v4, s33
	v_mov_b32_e32 v6, s7
	v_add_u32_e32 v4, s22, v4
	v_ashrrev_i32_e32 v5, 31, v4
	v_lshlrev_b64 v[4:5], 3, v[4:5]
	v_add_co_u32_e32 v4, vcc, s6, v4
	v_addc_co_u32_e32 v5, vcc, v6, v5, vcc
	global_load_dwordx2 v[6:7], v[4:5], off
.LBB65_32:
	s_waitcnt vmcnt(0)
	v_add_u32_e32 v4, s22, v10
	v_ashrrev_i32_e32 v5, 31, v4
	v_lshlrev_b64 v[4:5], 3, v[4:5]
	s_waitcnt vmcnt(0)
	v_cmp_neq_f32_e64 s[2:3], 0, v7
	v_add_co_u32_e32 v8, vcc, s8, v4
	v_addc_co_u32_e32 v9, vcc, v14, v5, vcc
	global_load_dwordx2 v[4:5], v[8:9], off
	v_cmp_neq_f32_e32 vcc, 0, v6
	s_or_b64 s[24:25], vcc, s[2:3]
	s_or_b64 s[18:19], s[18:19], exec
	s_and_saveexec_b64 s[2:3], s[24:25]
	s_cbranch_execz .LBB65_34
; %bb.33:
	v_mul_f32_e32 v15, v7, v7
	v_fmac_f32_e32 v15, v6, v6
	v_div_scale_f32 v16, s[24:25], v15, v15, 1.0
	v_div_scale_f32 v17, vcc, 1.0, v15, 1.0
	s_andn2_b64 s[18:19], s[18:19], exec
	s_and_b64 s[20:21], s[20:21], exec
	s_or_b64 s[18:19], s[18:19], s[20:21]
	v_rcp_f32_e32 v18, v16
	v_fma_f32 v19, -v16, v18, 1.0
	v_fmac_f32_e32 v18, v19, v18
	v_mul_f32_e32 v19, v17, v18
	v_fma_f32 v20, -v16, v19, v17
	v_fmac_f32_e32 v19, v20, v18
	v_fma_f32 v16, -v16, v19, v17
	v_div_fmas_f32 v16, v16, v18, v19
	s_waitcnt vmcnt(0)
	v_mul_f32_e32 v17, v7, v5
	v_mul_f32_e64 v7, v7, -v4
	v_fmac_f32_e32 v17, v4, v6
	v_fmac_f32_e32 v7, v5, v6
	v_div_fixup_f32 v5, v16, v15, 1.0
	v_mul_f32_e32 v4, v5, v17
	v_mul_f32_e32 v5, v5, v7
	global_store_dwordx2 v[8:9], v[4:5], off
.LBB65_34:
	s_or_b64 exec, exec, s[2:3]
	v_add_u32_e32 v8, s22, v12
	v_cmp_gt_i32_e32 vcc, s33, v8
	s_and_saveexec_b64 s[2:3], vcc
	s_cbranch_execz .LBB65_39
; %bb.35:
	v_add_u32_e32 v6, s22, v11
	v_mul_lo_u32 v9, v6, s33
	s_mov_b64 s[20:21], 0
	v_mov_b32_e32 v15, v13
	s_branch .LBB65_37
.LBB65_36:                              ;   in Loop: Header=BB65_37 Depth=1
	v_ashrrev_i32_e32 v7, 31, v6
	v_lshlrev_b64 v[6:7], 3, v[6:7]
	v_mov_b32_e32 v16, s7
	v_add_co_u32_e32 v6, vcc, s6, v6
	v_addc_co_u32_e32 v7, vcc, v16, v7, vcc
	v_add_u32_e32 v16, v10, v8
	v_ashrrev_i32_e32 v17, 31, v16
	v_lshlrev_b64 v[16:17], 3, v[16:17]
	global_load_dwordx2 v[6:7], v[6:7], off
	v_mov_b32_e32 v18, s9
	v_add_co_u32_e32 v16, vcc, s8, v16
	v_addc_co_u32_e32 v17, vcc, v18, v17, vcc
	global_load_dwordx2 v[18:19], v[16:17], off
	v_add_u32_e32 v8, 32, v8
	v_cmp_le_i32_e32 vcc, s33, v8
	s_or_b64 s[20:21], vcc, s[20:21]
	v_add_u32_e32 v15, s23, v15
	s_waitcnt vmcnt(1)
	v_mul_f32_e64 v20, v7, -v5
	v_mul_f32_e32 v7, v4, v7
	v_fmac_f32_e32 v20, v4, v6
	v_fmac_f32_e32 v7, v5, v6
	s_waitcnt vmcnt(0)
	v_sub_f32_e32 v6, v18, v20
	v_sub_f32_e32 v7, v19, v7
	global_store_dwordx2 v[16:17], v[6:7], off
	s_andn2_b64 exec, exec, s[20:21]
	s_cbranch_execz .LBB65_39
.LBB65_37:                              ; =>This Inner Loop Header: Depth=1
	s_andn2_b64 vcc, exec, s[12:13]
	v_mov_b32_e32 v6, v15
	s_cbranch_vccnz .LBB65_36
; %bb.38:                               ;   in Loop: Header=BB65_37 Depth=1
	v_add_u32_e32 v6, v8, v9
	s_branch .LBB65_36
.LBB65_39:
	s_or_b64 exec, exec, s[2:3]
	s_add_i32 s22, s22, 1
	s_cmp_eq_u32 s22, s33
	v_add_u32_e32 v13, s17, v13
	s_cbranch_scc1 .LBB65_41
; %bb.40:
	s_mov_b64 s[20:21], s[18:19]
	s_and_b64 vcc, exec, s[0:1]
	s_cbranch_vccnz .LBB65_30
	s_branch .LBB65_31
.LBB65_41:
	s_and_b64 s[0:1], s[18:19], exec
.LBB65_42:
	s_or_b64 exec, exec, s[4:5]
	v_cmp_eq_u32_e32 vcc, 0, v0
	s_and_b64 exec, exec, vcc
	s_cbranch_execz .LBB65_48
; %bb.43:
	v_mov_b32_e32 v0, s11
	v_add_co_u32_e32 v2, vcc, s10, v2
	v_addc_co_u32_e32 v3, vcc, v0, v3, vcc
	v_mov_b32_e32 v0, 1
	s_waitcnt vmcnt(0)
	global_store_dword v[2:3], v0, off
	s_and_b64 exec, exec, s[0:1]
	s_cbranch_execz .LBB65_48
; %bb.44:
	s_mov_b64 s[0:1], exec
	v_add_u32_e32 v0, s16, v1
	s_brev_b32 s2, -2
.LBB65_45:                              ; =>This Inner Loop Header: Depth=1
	s_ff1_i32_b64 s3, s[0:1]
	v_readlane_b32 s6, v0, s3
	s_lshl_b64 s[4:5], 1, s3
	s_min_i32 s2, s2, s6
	s_andn2_b64 s[0:1], s[0:1], s[4:5]
	s_cmp_lg_u64 s[0:1], 0
	s_cbranch_scc1 .LBB65_45
; %bb.46:
	v_mbcnt_lo_u32_b32 v0, exec_lo, 0
	v_mbcnt_hi_u32_b32 v0, exec_hi, v0
	v_cmp_eq_u32_e32 vcc, 0, v0
	s_and_saveexec_b64 s[0:1], vcc
	s_xor_b64 s[0:1], exec, s[0:1]
	s_cbranch_execz .LBB65_48
; %bb.47:
	v_mov_b32_e32 v0, 0
	v_mov_b32_e32 v1, s2
	global_atomic_smin v0, v1, s[14:15]
.LBB65_48:
	s_endpgm
	.section	.rodata,"a",@progbits
	.p2align	6, 0x0
	.amdhsa_kernel _ZN9rocsparseL19bsrsv_lower_generalILj128ELj32ELb1E21rocsparse_complex_numIfEEEviNS_24const_host_device_scalarIT2_EEPKiS7_PKS4_iS9_PS4_PiSB_SB_21rocsparse_index_base_20rocsparse_diag_type_20rocsparse_direction_b
		.amdhsa_group_segment_fixed_size 0
		.amdhsa_private_segment_fixed_size 0
		.amdhsa_kernarg_size 104
		.amdhsa_user_sgpr_count 6
		.amdhsa_user_sgpr_private_segment_buffer 1
		.amdhsa_user_sgpr_dispatch_ptr 0
		.amdhsa_user_sgpr_queue_ptr 0
		.amdhsa_user_sgpr_kernarg_segment_ptr 1
		.amdhsa_user_sgpr_dispatch_id 0
		.amdhsa_user_sgpr_flat_scratch_init 0
		.amdhsa_user_sgpr_private_segment_size 0
		.amdhsa_uses_dynamic_stack 0
		.amdhsa_system_sgpr_private_segment_wavefront_offset 0
		.amdhsa_system_sgpr_workgroup_id_x 1
		.amdhsa_system_sgpr_workgroup_id_y 0
		.amdhsa_system_sgpr_workgroup_id_z 0
		.amdhsa_system_sgpr_workgroup_info 0
		.amdhsa_system_vgpr_workitem_id 0
		.amdhsa_next_free_vgpr 21
		.amdhsa_next_free_sgpr 35
		.amdhsa_reserve_vcc 1
		.amdhsa_reserve_flat_scratch 0
		.amdhsa_float_round_mode_32 0
		.amdhsa_float_round_mode_16_64 0
		.amdhsa_float_denorm_mode_32 3
		.amdhsa_float_denorm_mode_16_64 3
		.amdhsa_dx10_clamp 1
		.amdhsa_ieee_mode 1
		.amdhsa_fp16_overflow 0
		.amdhsa_exception_fp_ieee_invalid_op 0
		.amdhsa_exception_fp_denorm_src 0
		.amdhsa_exception_fp_ieee_div_zero 0
		.amdhsa_exception_fp_ieee_overflow 0
		.amdhsa_exception_fp_ieee_underflow 0
		.amdhsa_exception_fp_ieee_inexact 0
		.amdhsa_exception_int_div_zero 0
	.end_amdhsa_kernel
	.section	.text._ZN9rocsparseL19bsrsv_lower_generalILj128ELj32ELb1E21rocsparse_complex_numIfEEEviNS_24const_host_device_scalarIT2_EEPKiS7_PKS4_iS9_PS4_PiSB_SB_21rocsparse_index_base_20rocsparse_diag_type_20rocsparse_direction_b,"axG",@progbits,_ZN9rocsparseL19bsrsv_lower_generalILj128ELj32ELb1E21rocsparse_complex_numIfEEEviNS_24const_host_device_scalarIT2_EEPKiS7_PKS4_iS9_PS4_PiSB_SB_21rocsparse_index_base_20rocsparse_diag_type_20rocsparse_direction_b,comdat
.Lfunc_end65:
	.size	_ZN9rocsparseL19bsrsv_lower_generalILj128ELj32ELb1E21rocsparse_complex_numIfEEEviNS_24const_host_device_scalarIT2_EEPKiS7_PKS4_iS9_PS4_PiSB_SB_21rocsparse_index_base_20rocsparse_diag_type_20rocsparse_direction_b, .Lfunc_end65-_ZN9rocsparseL19bsrsv_lower_generalILj128ELj32ELb1E21rocsparse_complex_numIfEEEviNS_24const_host_device_scalarIT2_EEPKiS7_PKS4_iS9_PS4_PiSB_SB_21rocsparse_index_base_20rocsparse_diag_type_20rocsparse_direction_b
                                        ; -- End function
	.set _ZN9rocsparseL19bsrsv_lower_generalILj128ELj32ELb1E21rocsparse_complex_numIfEEEviNS_24const_host_device_scalarIT2_EEPKiS7_PKS4_iS9_PS4_PiSB_SB_21rocsparse_index_base_20rocsparse_diag_type_20rocsparse_direction_b.num_vgpr, 21
	.set _ZN9rocsparseL19bsrsv_lower_generalILj128ELj32ELb1E21rocsparse_complex_numIfEEEviNS_24const_host_device_scalarIT2_EEPKiS7_PKS4_iS9_PS4_PiSB_SB_21rocsparse_index_base_20rocsparse_diag_type_20rocsparse_direction_b.num_agpr, 0
	.set _ZN9rocsparseL19bsrsv_lower_generalILj128ELj32ELb1E21rocsparse_complex_numIfEEEviNS_24const_host_device_scalarIT2_EEPKiS7_PKS4_iS9_PS4_PiSB_SB_21rocsparse_index_base_20rocsparse_diag_type_20rocsparse_direction_b.numbered_sgpr, 35
	.set _ZN9rocsparseL19bsrsv_lower_generalILj128ELj32ELb1E21rocsparse_complex_numIfEEEviNS_24const_host_device_scalarIT2_EEPKiS7_PKS4_iS9_PS4_PiSB_SB_21rocsparse_index_base_20rocsparse_diag_type_20rocsparse_direction_b.num_named_barrier, 0
	.set _ZN9rocsparseL19bsrsv_lower_generalILj128ELj32ELb1E21rocsparse_complex_numIfEEEviNS_24const_host_device_scalarIT2_EEPKiS7_PKS4_iS9_PS4_PiSB_SB_21rocsparse_index_base_20rocsparse_diag_type_20rocsparse_direction_b.private_seg_size, 0
	.set _ZN9rocsparseL19bsrsv_lower_generalILj128ELj32ELb1E21rocsparse_complex_numIfEEEviNS_24const_host_device_scalarIT2_EEPKiS7_PKS4_iS9_PS4_PiSB_SB_21rocsparse_index_base_20rocsparse_diag_type_20rocsparse_direction_b.uses_vcc, 1
	.set _ZN9rocsparseL19bsrsv_lower_generalILj128ELj32ELb1E21rocsparse_complex_numIfEEEviNS_24const_host_device_scalarIT2_EEPKiS7_PKS4_iS9_PS4_PiSB_SB_21rocsparse_index_base_20rocsparse_diag_type_20rocsparse_direction_b.uses_flat_scratch, 0
	.set _ZN9rocsparseL19bsrsv_lower_generalILj128ELj32ELb1E21rocsparse_complex_numIfEEEviNS_24const_host_device_scalarIT2_EEPKiS7_PKS4_iS9_PS4_PiSB_SB_21rocsparse_index_base_20rocsparse_diag_type_20rocsparse_direction_b.has_dyn_sized_stack, 0
	.set _ZN9rocsparseL19bsrsv_lower_generalILj128ELj32ELb1E21rocsparse_complex_numIfEEEviNS_24const_host_device_scalarIT2_EEPKiS7_PKS4_iS9_PS4_PiSB_SB_21rocsparse_index_base_20rocsparse_diag_type_20rocsparse_direction_b.has_recursion, 0
	.set _ZN9rocsparseL19bsrsv_lower_generalILj128ELj32ELb1E21rocsparse_complex_numIfEEEviNS_24const_host_device_scalarIT2_EEPKiS7_PKS4_iS9_PS4_PiSB_SB_21rocsparse_index_base_20rocsparse_diag_type_20rocsparse_direction_b.has_indirect_call, 0
	.section	.AMDGPU.csdata,"",@progbits
; Kernel info:
; codeLenInByte = 1760
; TotalNumSgprs: 39
; NumVgprs: 21
; ScratchSize: 0
; MemoryBound: 0
; FloatMode: 240
; IeeeMode: 1
; LDSByteSize: 0 bytes/workgroup (compile time only)
; SGPRBlocks: 4
; VGPRBlocks: 5
; NumSGPRsForWavesPerEU: 39
; NumVGPRsForWavesPerEU: 21
; Occupancy: 10
; WaveLimiterHint : 1
; COMPUTE_PGM_RSRC2:SCRATCH_EN: 0
; COMPUTE_PGM_RSRC2:USER_SGPR: 6
; COMPUTE_PGM_RSRC2:TRAP_HANDLER: 0
; COMPUTE_PGM_RSRC2:TGID_X_EN: 1
; COMPUTE_PGM_RSRC2:TGID_Y_EN: 0
; COMPUTE_PGM_RSRC2:TGID_Z_EN: 0
; COMPUTE_PGM_RSRC2:TIDIG_COMP_CNT: 0
	.section	.text._ZN9rocsparseL19bsrsv_lower_generalILj128ELj32ELb0E21rocsparse_complex_numIfEEEviNS_24const_host_device_scalarIT2_EEPKiS7_PKS4_iS9_PS4_PiSB_SB_21rocsparse_index_base_20rocsparse_diag_type_20rocsparse_direction_b,"axG",@progbits,_ZN9rocsparseL19bsrsv_lower_generalILj128ELj32ELb0E21rocsparse_complex_numIfEEEviNS_24const_host_device_scalarIT2_EEPKiS7_PKS4_iS9_PS4_PiSB_SB_21rocsparse_index_base_20rocsparse_diag_type_20rocsparse_direction_b,comdat
	.globl	_ZN9rocsparseL19bsrsv_lower_generalILj128ELj32ELb0E21rocsparse_complex_numIfEEEviNS_24const_host_device_scalarIT2_EEPKiS7_PKS4_iS9_PS4_PiSB_SB_21rocsparse_index_base_20rocsparse_diag_type_20rocsparse_direction_b ; -- Begin function _ZN9rocsparseL19bsrsv_lower_generalILj128ELj32ELb0E21rocsparse_complex_numIfEEEviNS_24const_host_device_scalarIT2_EEPKiS7_PKS4_iS9_PS4_PiSB_SB_21rocsparse_index_base_20rocsparse_diag_type_20rocsparse_direction_b
	.p2align	8
	.type	_ZN9rocsparseL19bsrsv_lower_generalILj128ELj32ELb0E21rocsparse_complex_numIfEEEviNS_24const_host_device_scalarIT2_EEPKiS7_PKS4_iS9_PS4_PiSB_SB_21rocsparse_index_base_20rocsparse_diag_type_20rocsparse_direction_b,@function
_ZN9rocsparseL19bsrsv_lower_generalILj128ELj32ELb0E21rocsparse_complex_numIfEEEviNS_24const_host_device_scalarIT2_EEPKiS7_PKS4_iS9_PS4_PiSB_SB_21rocsparse_index_base_20rocsparse_diag_type_20rocsparse_direction_b: ; @_ZN9rocsparseL19bsrsv_lower_generalILj128ELj32ELb0E21rocsparse_complex_numIfEEEviNS_24const_host_device_scalarIT2_EEPKiS7_PKS4_iS9_PS4_PiSB_SB_21rocsparse_index_base_20rocsparse_diag_type_20rocsparse_direction_b
; %bb.0:
	s_load_dwordx4 s[16:19], s[4:5], 0x58
	s_load_dwordx2 s[20:21], s[4:5], 0x8
	s_waitcnt lgkmcnt(0)
	s_bitcmp1_b32 s19, 0
	s_cselect_b64 s[2:3], -1, 0
	s_xor_b64 s[0:1], s[2:3], -1
	s_and_b64 vcc, exec, s[2:3]
	s_mov_b32 s19, s20
	s_cbranch_vccnz .LBB66_2
; %bb.1:
	s_load_dword s19, s[20:21], 0x0
.LBB66_2:
	s_andn2_b64 vcc, exec, s[0:1]
	s_cbranch_vccnz .LBB66_4
; %bb.3:
	s_load_dword s21, s[20:21], 0x4
.LBB66_4:
	s_nop 0
	s_load_dword s20, s[4:5], 0x0
	s_lshl_b32 s0, s6, 2
	v_lshrrev_b32_e32 v1, 5, v0
	s_and_b32 s0, s0, 0x7fffffc
	v_or_b32_e32 v1, s0, v1
	s_waitcnt lgkmcnt(0)
	v_cmp_gt_i32_e32 vcc, s20, v1
	s_and_saveexec_b64 s[0:1], vcc
	s_cbranch_execz .LBB66_46
; %bb.5:
	s_load_dwordx8 s[8:15], s[4:5], 0x38
	v_lshlrev_b32_e32 v1, 2, v1
	s_load_dword s33, s[4:5], 0x28
	v_and_b32_e32 v0, 31, v0
	s_waitcnt lgkmcnt(0)
	global_load_dword v1, v1, s[12:13]
	s_load_dwordx4 s[0:3], s[4:5], 0x10
	s_load_dwordx2 s[6:7], s[4:5], 0x20
	s_waitcnt lgkmcnt(0)
	v_mov_b32_e32 v5, s1
	s_waitcnt vmcnt(0)
	v_ashrrev_i32_e32 v2, 31, v1
	v_lshlrev_b64 v[2:3], 2, v[1:2]
	v_add_co_u32_e32 v4, vcc, s0, v2
	v_addc_co_u32_e32 v5, vcc, v5, v3, vcc
	global_load_dwordx2 v[5:6], v[4:5], off
	v_cmp_gt_i32_e64 s[0:1], s33, v0
	s_and_saveexec_b64 s[12:13], s[0:1]
	s_cbranch_execz .LBB66_8
; %bb.6:
	v_mad_u64_u32 v[7:8], s[22:23], v1, s33, v[0:1]
	s_load_dwordx2 s[4:5], s[4:5], 0x30
	v_ashrrev_i32_e32 v8, 31, v7
	v_lshlrev_b64 v[9:10], 3, v[7:8]
	s_waitcnt lgkmcnt(0)
	v_mov_b32_e32 v4, s5
	v_or_b32_e32 v9, 4, v9
	v_add_co_u32_e32 v7, vcc, s4, v9
	v_addc_co_u32_e32 v8, vcc, v4, v10, vcc
	v_mov_b32_e32 v4, s9
	v_add_co_u32_e32 v9, vcc, s8, v9
	v_addc_co_u32_e32 v10, vcc, v4, v10, vcc
	s_mov_b64 s[4:5], 0
	v_mov_b32_e32 v4, v0
.LBB66_7:                               ; =>This Inner Loop Header: Depth=1
	global_load_dwordx2 v[11:12], v[7:8], off offset:-4
	v_add_co_u32_e32 v7, vcc, 0x100, v7
	v_add_u32_e32 v4, 32, v4
	v_addc_co_u32_e32 v8, vcc, 0, v8, vcc
	v_cmp_le_i32_e32 vcc, s33, v4
	s_or_b64 s[4:5], vcc, s[4:5]
	s_waitcnt vmcnt(0)
	v_mul_f32_e64 v13, v12, -s21
	v_mul_f32_e32 v14, s19, v12
	v_fmac_f32_e32 v13, s19, v11
	v_fmac_f32_e32 v14, s21, v11
	global_store_dwordx2 v[9:10], v[13:14], off offset:-4
	v_add_co_u32_e32 v9, vcc, 0x100, v9
	v_addc_co_u32_e32 v10, vcc, 0, v10, vcc
	s_andn2_b64 exec, exec, s[4:5]
	s_cbranch_execnz .LBB66_7
.LBB66_8:
	s_or_b64 exec, exec, s[12:13]
	v_mul_lo_u32 v10, v1, s33
	s_waitcnt vmcnt(0)
	v_subrev_u32_e32 v4, s16, v5
	v_cmp_lt_i32_e32 vcc, v5, v6
	v_mov_b32_e32 v5, s20
	s_and_saveexec_b64 s[4:5], vcc
	s_cbranch_execz .LBB66_26
; %bb.9:
	v_mad_u64_u32 v[7:8], s[12:13], s33, v4, v[0:1]
	s_cmp_lg_u32 s18, 0
	v_subrev_u32_e32 v9, s16, v6
	v_mul_lo_u32 v11, s33, v7
	s_cselect_b64 s[12:13], -1, 0
	s_mul_i32 s19, s33, s33
	s_lshl_b32 s34, s33, 5
	s_mov_b64 s[20:21], 0
	v_mov_b32_e32 v12, s3
                                        ; implicit-def: $sgpr22_sgpr23
	s_branch .LBB66_12
.LBB66_10:                              ;   in Loop: Header=BB66_12 Depth=1
	s_or_b64 exec, exec, s[26:27]
	v_add_u32_e32 v4, 1, v4
	v_cmp_ge_i32_e32 vcc, v4, v9
	s_andn2_b64 s[22:23], s[22:23], exec
	s_and_b64 s[26:27], vcc, exec
	v_add_u32_e32 v11, s19, v11
	s_or_b64 s[22:23], s[22:23], s[26:27]
.LBB66_11:                              ;   in Loop: Header=BB66_12 Depth=1
	s_or_b64 exec, exec, s[24:25]
	s_and_b64 s[24:25], exec, s[22:23]
	s_or_b64 s[20:21], s[24:25], s[20:21]
	s_andn2_b64 exec, exec, s[20:21]
	s_cbranch_execz .LBB66_25
.LBB66_12:                              ; =>This Loop Header: Depth=1
                                        ;     Child Loop BB66_15 Depth 2
                                        ;     Child Loop BB66_19 Depth 2
                                        ;       Child Loop BB66_21 Depth 3
	v_ashrrev_i32_e32 v5, 31, v4
	v_lshlrev_b64 v[5:6], 2, v[4:5]
	s_or_b64 s[22:23], s[22:23], exec
	v_add_co_u32_e32 v5, vcc, s2, v5
	v_addc_co_u32_e32 v6, vcc, v12, v6, vcc
	global_load_dword v5, v[5:6], off
	s_waitcnt vmcnt(0)
	v_subrev_u32_e32 v5, s16, v5
	v_cmp_lt_i32_e32 vcc, v5, v1
	s_and_saveexec_b64 s[24:25], vcc
	s_cbranch_execz .LBB66_11
; %bb.13:                               ;   in Loop: Header=BB66_12 Depth=1
	v_ashrrev_i32_e32 v6, 31, v5
	v_lshlrev_b64 v[6:7], 2, v[5:6]
	v_mov_b32_e32 v8, s11
	v_add_co_u32_e32 v6, vcc, s10, v6
	v_addc_co_u32_e32 v7, vcc, v8, v7, vcc
	global_load_dword v8, v[6:7], off glc
	s_waitcnt vmcnt(0)
	v_cmp_eq_u32_e32 vcc, 0, v8
	s_and_saveexec_b64 s[26:27], vcc
	s_cbranch_execz .LBB66_16
; %bb.14:                               ;   in Loop: Header=BB66_12 Depth=1
	s_mov_b64 s[28:29], 0
.LBB66_15:                              ;   Parent Loop BB66_12 Depth=1
                                        ; =>  This Inner Loop Header: Depth=2
	global_load_dword v8, v[6:7], off glc
	s_waitcnt vmcnt(0)
	v_cmp_ne_u32_e32 vcc, 0, v8
	s_or_b64 s[28:29], vcc, s[28:29]
	s_andn2_b64 exec, exec, s[28:29]
	s_cbranch_execnz .LBB66_15
.LBB66_16:                              ;   in Loop: Header=BB66_12 Depth=1
	s_or_b64 exec, exec, s[26:27]
	buffer_wbinvl1_vol
	s_and_saveexec_b64 s[26:27], s[0:1]
	s_cbranch_execz .LBB66_10
; %bb.17:                               ;   in Loop: Header=BB66_12 Depth=1
	v_mul_lo_u32 v13, v4, s33
	v_mul_lo_u32 v14, v5, s33
	s_mov_b64 s[28:29], 0
	v_mov_b32_e32 v15, v11
	v_mov_b32_e32 v6, v0
	s_branch .LBB66_19
.LBB66_18:                              ;   in Loop: Header=BB66_19 Depth=2
	v_add_u32_e32 v7, v6, v10
	v_ashrrev_i32_e32 v8, 31, v7
	v_lshlrev_b64 v[7:8], 3, v[7:8]
	v_mov_b32_e32 v18, s9
	v_add_co_u32_e32 v7, vcc, s8, v7
	v_addc_co_u32_e32 v8, vcc, v18, v8, vcc
	global_load_dwordx2 v[18:19], v[7:8], off
	v_add_u32_e32 v6, 32, v6
	v_cmp_le_i32_e32 vcc, s33, v6
	s_or_b64 s[28:29], vcc, s[28:29]
	v_add_u32_e32 v15, s34, v15
	s_waitcnt vmcnt(0)
	v_sub_f32_e32 v17, v18, v17
	v_sub_f32_e32 v18, v19, v16
	global_store_dwordx2 v[7:8], v[17:18], off
	s_andn2_b64 exec, exec, s[28:29]
	s_cbranch_execz .LBB66_10
.LBB66_19:                              ;   Parent Loop BB66_12 Depth=1
                                        ; =>  This Loop Header: Depth=2
                                        ;       Child Loop BB66_21 Depth 3
	v_mov_b32_e32 v16, 0
	s_mov_b32 s3, 0
	v_mov_b32_e32 v17, 0
	s_branch .LBB66_21
.LBB66_20:                              ;   in Loop: Header=BB66_21 Depth=3
	v_ashrrev_i32_e32 v8, 31, v7
	v_lshlrev_b64 v[7:8], 3, v[7:8]
	v_mov_b32_e32 v18, s7
	v_add_co_u32_e32 v7, vcc, s6, v7
	v_addc_co_u32_e32 v8, vcc, v18, v8, vcc
	v_add_u32_e32 v18, s3, v14
	v_ashrrev_i32_e32 v19, 31, v18
	v_lshlrev_b64 v[18:19], 3, v[18:19]
	v_mov_b32_e32 v20, s9
	v_add_co_u32_e32 v18, vcc, s8, v18
	v_addc_co_u32_e32 v19, vcc, v20, v19, vcc
	global_load_dwordx2 v[7:8], v[7:8], off
	s_add_i32 s3, s3, 1
	global_load_dwordx2 v[18:19], v[18:19], off
	s_cmp_eq_u32 s33, s3
	s_waitcnt vmcnt(0)
	v_fmac_f32_e32 v17, v7, v18
	v_fmac_f32_e32 v16, v8, v18
	v_fma_f32 v17, -v8, v19, v17
	v_fmac_f32_e32 v16, v7, v19
	s_cbranch_scc1 .LBB66_18
.LBB66_21:                              ;   Parent Loop BB66_12 Depth=1
                                        ;     Parent Loop BB66_19 Depth=2
                                        ; =>    This Inner Loop Header: Depth=3
	s_and_b64 vcc, exec, s[12:13]
	s_cbranch_vccz .LBB66_23
; %bb.22:                               ;   in Loop: Header=BB66_21 Depth=3
	v_add_u32_e32 v7, s3, v13
	v_mad_u64_u32 v[7:8], s[30:31], v7, s33, v[6:7]
	s_cbranch_execnz .LBB66_20
	s_branch .LBB66_24
.LBB66_23:                              ;   in Loop: Header=BB66_21 Depth=3
                                        ; implicit-def: $vgpr7
.LBB66_24:                              ;   in Loop: Header=BB66_21 Depth=3
	v_add_u32_e32 v7, s3, v15
	s_branch .LBB66_20
.LBB66_25:
	s_or_b64 exec, exec, s[20:21]
.LBB66_26:
	s_or_b64 exec, exec, s[4:5]
	s_cmp_gt_i32 s33, 0
	v_cmp_eq_u32_e32 vcc, v5, v1
	s_cselect_b64 s[0:1], -1, 0
	s_mov_b32 s22, 0
	s_and_b64 s[2:3], s[0:1], vcc
	s_mov_b64 s[0:1], 0
	s_and_saveexec_b64 s[4:5], s[2:3]
	s_cbranch_execz .LBB66_40
; %bb.27:
	v_mul_lo_u32 v11, v4, s33
	s_cmp_eq_u32 s17, 0
	s_cselect_b64 s[0:1], -1, 0
	s_cmp_lg_u32 s18, 0
	v_add_u32_e32 v4, v11, v0
	v_mul_lo_u32 v4, s33, v4
	v_add_u32_e32 v12, 1, v0
	s_cselect_b64 s[12:13], -1, 0
	s_add_i32 s17, s33, 1
	v_add_u32_e32 v13, s33, v4
	v_cndmask_b32_e64 v4, 0, 1, s[0:1]
	s_lshl_b32 s23, s33, 5
	s_mov_b64 s[20:21], 0
	v_cmp_ne_u32_e64 s[0:1], 1, v4
	v_mov_b32_e32 v14, s9
                                        ; implicit-def: $sgpr18_sgpr19
	s_and_b64 vcc, exec, s[0:1]
	s_cbranch_vccz .LBB66_29
.LBB66_28:
	v_mov_b32_e32 v7, 0
	v_mov_b32_e32 v6, 1.0
	s_branch .LBB66_30
.LBB66_29:
	s_waitcnt vmcnt(0)
	v_add_u32_e32 v4, s22, v11
	v_mul_lo_u32 v4, v4, s33
	v_mov_b32_e32 v6, s7
	v_add_u32_e32 v4, s22, v4
	v_ashrrev_i32_e32 v5, 31, v4
	v_lshlrev_b64 v[4:5], 3, v[4:5]
	v_add_co_u32_e32 v4, vcc, s6, v4
	v_addc_co_u32_e32 v5, vcc, v6, v5, vcc
	global_load_dwordx2 v[6:7], v[4:5], off
.LBB66_30:
	s_waitcnt vmcnt(0)
	v_add_u32_e32 v4, s22, v10
	v_ashrrev_i32_e32 v5, 31, v4
	v_lshlrev_b64 v[4:5], 3, v[4:5]
	s_waitcnt vmcnt(0)
	v_cmp_neq_f32_e64 s[2:3], 0, v7
	v_add_co_u32_e32 v8, vcc, s8, v4
	v_addc_co_u32_e32 v9, vcc, v14, v5, vcc
	global_load_dwordx2 v[4:5], v[8:9], off
	v_cmp_neq_f32_e32 vcc, 0, v6
	s_or_b64 s[24:25], vcc, s[2:3]
	s_or_b64 s[18:19], s[18:19], exec
	s_and_saveexec_b64 s[2:3], s[24:25]
	s_cbranch_execz .LBB66_32
; %bb.31:
	v_mul_f32_e32 v15, v7, v7
	v_fmac_f32_e32 v15, v6, v6
	v_div_scale_f32 v16, s[24:25], v15, v15, 1.0
	v_div_scale_f32 v17, vcc, 1.0, v15, 1.0
	s_andn2_b64 s[18:19], s[18:19], exec
	s_and_b64 s[20:21], s[20:21], exec
	s_or_b64 s[18:19], s[18:19], s[20:21]
	v_rcp_f32_e32 v18, v16
	v_fma_f32 v19, -v16, v18, 1.0
	v_fmac_f32_e32 v18, v19, v18
	v_mul_f32_e32 v19, v17, v18
	v_fma_f32 v20, -v16, v19, v17
	v_fmac_f32_e32 v19, v20, v18
	v_fma_f32 v16, -v16, v19, v17
	v_div_fmas_f32 v16, v16, v18, v19
	s_waitcnt vmcnt(0)
	v_mul_f32_e32 v17, v7, v5
	v_mul_f32_e64 v7, v7, -v4
	v_fmac_f32_e32 v17, v4, v6
	v_fmac_f32_e32 v7, v5, v6
	v_div_fixup_f32 v5, v16, v15, 1.0
	v_mul_f32_e32 v4, v5, v17
	v_mul_f32_e32 v5, v5, v7
	global_store_dwordx2 v[8:9], v[4:5], off
.LBB66_32:
	s_or_b64 exec, exec, s[2:3]
	v_add_u32_e32 v8, s22, v12
	v_cmp_gt_i32_e32 vcc, s33, v8
	s_and_saveexec_b64 s[2:3], vcc
	s_cbranch_execz .LBB66_37
; %bb.33:
	v_add_u32_e32 v6, s22, v11
	v_mul_lo_u32 v9, v6, s33
	s_mov_b64 s[20:21], 0
	v_mov_b32_e32 v15, v13
	s_branch .LBB66_35
.LBB66_34:                              ;   in Loop: Header=BB66_35 Depth=1
	v_ashrrev_i32_e32 v7, 31, v6
	v_lshlrev_b64 v[6:7], 3, v[6:7]
	v_mov_b32_e32 v16, s7
	v_add_co_u32_e32 v6, vcc, s6, v6
	v_addc_co_u32_e32 v7, vcc, v16, v7, vcc
	v_add_u32_e32 v16, v10, v8
	v_ashrrev_i32_e32 v17, 31, v16
	v_lshlrev_b64 v[16:17], 3, v[16:17]
	global_load_dwordx2 v[6:7], v[6:7], off
	v_mov_b32_e32 v18, s9
	v_add_co_u32_e32 v16, vcc, s8, v16
	v_addc_co_u32_e32 v17, vcc, v18, v17, vcc
	global_load_dwordx2 v[18:19], v[16:17], off
	v_add_u32_e32 v8, 32, v8
	v_cmp_le_i32_e32 vcc, s33, v8
	s_or_b64 s[20:21], vcc, s[20:21]
	v_add_u32_e32 v15, s23, v15
	s_waitcnt vmcnt(1)
	v_mul_f32_e64 v20, v7, -v5
	v_mul_f32_e32 v7, v4, v7
	v_fmac_f32_e32 v20, v4, v6
	v_fmac_f32_e32 v7, v5, v6
	s_waitcnt vmcnt(0)
	v_sub_f32_e32 v6, v18, v20
	v_sub_f32_e32 v7, v19, v7
	global_store_dwordx2 v[16:17], v[6:7], off
	s_andn2_b64 exec, exec, s[20:21]
	s_cbranch_execz .LBB66_37
.LBB66_35:                              ; =>This Inner Loop Header: Depth=1
	s_andn2_b64 vcc, exec, s[12:13]
	v_mov_b32_e32 v6, v15
	s_cbranch_vccnz .LBB66_34
; %bb.36:                               ;   in Loop: Header=BB66_35 Depth=1
	v_add_u32_e32 v6, v8, v9
	s_branch .LBB66_34
.LBB66_37:
	s_or_b64 exec, exec, s[2:3]
	s_add_i32 s22, s22, 1
	s_cmp_eq_u32 s22, s33
	v_add_u32_e32 v13, s17, v13
	s_cbranch_scc1 .LBB66_39
; %bb.38:
	s_mov_b64 s[20:21], s[18:19]
	s_and_b64 vcc, exec, s[0:1]
	s_cbranch_vccnz .LBB66_28
	s_branch .LBB66_29
.LBB66_39:
	s_and_b64 s[0:1], s[18:19], exec
.LBB66_40:
	s_or_b64 exec, exec, s[4:5]
	v_cmp_eq_u32_e32 vcc, 0, v0
	s_and_b64 exec, exec, vcc
	s_cbranch_execz .LBB66_46
; %bb.41:
	v_mov_b32_e32 v0, s11
	v_add_co_u32_e32 v2, vcc, s10, v2
	v_addc_co_u32_e32 v3, vcc, v0, v3, vcc
	v_mov_b32_e32 v0, 1
	s_waitcnt vmcnt(0)
	global_store_dword v[2:3], v0, off
	s_and_b64 exec, exec, s[0:1]
	s_cbranch_execz .LBB66_46
; %bb.42:
	s_mov_b64 s[0:1], exec
	v_add_u32_e32 v0, s16, v1
	s_brev_b32 s2, -2
.LBB66_43:                              ; =>This Inner Loop Header: Depth=1
	s_ff1_i32_b64 s3, s[0:1]
	v_readlane_b32 s6, v0, s3
	s_lshl_b64 s[4:5], 1, s3
	s_min_i32 s2, s2, s6
	s_andn2_b64 s[0:1], s[0:1], s[4:5]
	s_cmp_lg_u64 s[0:1], 0
	s_cbranch_scc1 .LBB66_43
; %bb.44:
	v_mbcnt_lo_u32_b32 v0, exec_lo, 0
	v_mbcnt_hi_u32_b32 v0, exec_hi, v0
	v_cmp_eq_u32_e32 vcc, 0, v0
	s_and_saveexec_b64 s[0:1], vcc
	s_xor_b64 s[0:1], exec, s[0:1]
	s_cbranch_execz .LBB66_46
; %bb.45:
	v_mov_b32_e32 v0, 0
	v_mov_b32_e32 v1, s2
	global_atomic_smin v0, v1, s[14:15]
.LBB66_46:
	s_endpgm
	.section	.rodata,"a",@progbits
	.p2align	6, 0x0
	.amdhsa_kernel _ZN9rocsparseL19bsrsv_lower_generalILj128ELj32ELb0E21rocsparse_complex_numIfEEEviNS_24const_host_device_scalarIT2_EEPKiS7_PKS4_iS9_PS4_PiSB_SB_21rocsparse_index_base_20rocsparse_diag_type_20rocsparse_direction_b
		.amdhsa_group_segment_fixed_size 0
		.amdhsa_private_segment_fixed_size 0
		.amdhsa_kernarg_size 104
		.amdhsa_user_sgpr_count 6
		.amdhsa_user_sgpr_private_segment_buffer 1
		.amdhsa_user_sgpr_dispatch_ptr 0
		.amdhsa_user_sgpr_queue_ptr 0
		.amdhsa_user_sgpr_kernarg_segment_ptr 1
		.amdhsa_user_sgpr_dispatch_id 0
		.amdhsa_user_sgpr_flat_scratch_init 0
		.amdhsa_user_sgpr_private_segment_size 0
		.amdhsa_uses_dynamic_stack 0
		.amdhsa_system_sgpr_private_segment_wavefront_offset 0
		.amdhsa_system_sgpr_workgroup_id_x 1
		.amdhsa_system_sgpr_workgroup_id_y 0
		.amdhsa_system_sgpr_workgroup_id_z 0
		.amdhsa_system_sgpr_workgroup_info 0
		.amdhsa_system_vgpr_workitem_id 0
		.amdhsa_next_free_vgpr 21
		.amdhsa_next_free_sgpr 35
		.amdhsa_reserve_vcc 1
		.amdhsa_reserve_flat_scratch 0
		.amdhsa_float_round_mode_32 0
		.amdhsa_float_round_mode_16_64 0
		.amdhsa_float_denorm_mode_32 3
		.amdhsa_float_denorm_mode_16_64 3
		.amdhsa_dx10_clamp 1
		.amdhsa_ieee_mode 1
		.amdhsa_fp16_overflow 0
		.amdhsa_exception_fp_ieee_invalid_op 0
		.amdhsa_exception_fp_denorm_src 0
		.amdhsa_exception_fp_ieee_div_zero 0
		.amdhsa_exception_fp_ieee_overflow 0
		.amdhsa_exception_fp_ieee_underflow 0
		.amdhsa_exception_fp_ieee_inexact 0
		.amdhsa_exception_int_div_zero 0
	.end_amdhsa_kernel
	.section	.text._ZN9rocsparseL19bsrsv_lower_generalILj128ELj32ELb0E21rocsparse_complex_numIfEEEviNS_24const_host_device_scalarIT2_EEPKiS7_PKS4_iS9_PS4_PiSB_SB_21rocsparse_index_base_20rocsparse_diag_type_20rocsparse_direction_b,"axG",@progbits,_ZN9rocsparseL19bsrsv_lower_generalILj128ELj32ELb0E21rocsparse_complex_numIfEEEviNS_24const_host_device_scalarIT2_EEPKiS7_PKS4_iS9_PS4_PiSB_SB_21rocsparse_index_base_20rocsparse_diag_type_20rocsparse_direction_b,comdat
.Lfunc_end66:
	.size	_ZN9rocsparseL19bsrsv_lower_generalILj128ELj32ELb0E21rocsparse_complex_numIfEEEviNS_24const_host_device_scalarIT2_EEPKiS7_PKS4_iS9_PS4_PiSB_SB_21rocsparse_index_base_20rocsparse_diag_type_20rocsparse_direction_b, .Lfunc_end66-_ZN9rocsparseL19bsrsv_lower_generalILj128ELj32ELb0E21rocsparse_complex_numIfEEEviNS_24const_host_device_scalarIT2_EEPKiS7_PKS4_iS9_PS4_PiSB_SB_21rocsparse_index_base_20rocsparse_diag_type_20rocsparse_direction_b
                                        ; -- End function
	.set _ZN9rocsparseL19bsrsv_lower_generalILj128ELj32ELb0E21rocsparse_complex_numIfEEEviNS_24const_host_device_scalarIT2_EEPKiS7_PKS4_iS9_PS4_PiSB_SB_21rocsparse_index_base_20rocsparse_diag_type_20rocsparse_direction_b.num_vgpr, 21
	.set _ZN9rocsparseL19bsrsv_lower_generalILj128ELj32ELb0E21rocsparse_complex_numIfEEEviNS_24const_host_device_scalarIT2_EEPKiS7_PKS4_iS9_PS4_PiSB_SB_21rocsparse_index_base_20rocsparse_diag_type_20rocsparse_direction_b.num_agpr, 0
	.set _ZN9rocsparseL19bsrsv_lower_generalILj128ELj32ELb0E21rocsparse_complex_numIfEEEviNS_24const_host_device_scalarIT2_EEPKiS7_PKS4_iS9_PS4_PiSB_SB_21rocsparse_index_base_20rocsparse_diag_type_20rocsparse_direction_b.numbered_sgpr, 35
	.set _ZN9rocsparseL19bsrsv_lower_generalILj128ELj32ELb0E21rocsparse_complex_numIfEEEviNS_24const_host_device_scalarIT2_EEPKiS7_PKS4_iS9_PS4_PiSB_SB_21rocsparse_index_base_20rocsparse_diag_type_20rocsparse_direction_b.num_named_barrier, 0
	.set _ZN9rocsparseL19bsrsv_lower_generalILj128ELj32ELb0E21rocsparse_complex_numIfEEEviNS_24const_host_device_scalarIT2_EEPKiS7_PKS4_iS9_PS4_PiSB_SB_21rocsparse_index_base_20rocsparse_diag_type_20rocsparse_direction_b.private_seg_size, 0
	.set _ZN9rocsparseL19bsrsv_lower_generalILj128ELj32ELb0E21rocsparse_complex_numIfEEEviNS_24const_host_device_scalarIT2_EEPKiS7_PKS4_iS9_PS4_PiSB_SB_21rocsparse_index_base_20rocsparse_diag_type_20rocsparse_direction_b.uses_vcc, 1
	.set _ZN9rocsparseL19bsrsv_lower_generalILj128ELj32ELb0E21rocsparse_complex_numIfEEEviNS_24const_host_device_scalarIT2_EEPKiS7_PKS4_iS9_PS4_PiSB_SB_21rocsparse_index_base_20rocsparse_diag_type_20rocsparse_direction_b.uses_flat_scratch, 0
	.set _ZN9rocsparseL19bsrsv_lower_generalILj128ELj32ELb0E21rocsparse_complex_numIfEEEviNS_24const_host_device_scalarIT2_EEPKiS7_PKS4_iS9_PS4_PiSB_SB_21rocsparse_index_base_20rocsparse_diag_type_20rocsparse_direction_b.has_dyn_sized_stack, 0
	.set _ZN9rocsparseL19bsrsv_lower_generalILj128ELj32ELb0E21rocsparse_complex_numIfEEEviNS_24const_host_device_scalarIT2_EEPKiS7_PKS4_iS9_PS4_PiSB_SB_21rocsparse_index_base_20rocsparse_diag_type_20rocsparse_direction_b.has_recursion, 0
	.set _ZN9rocsparseL19bsrsv_lower_generalILj128ELj32ELb0E21rocsparse_complex_numIfEEEviNS_24const_host_device_scalarIT2_EEPKiS7_PKS4_iS9_PS4_PiSB_SB_21rocsparse_index_base_20rocsparse_diag_type_20rocsparse_direction_b.has_indirect_call, 0
	.section	.AMDGPU.csdata,"",@progbits
; Kernel info:
; codeLenInByte = 1704
; TotalNumSgprs: 39
; NumVgprs: 21
; ScratchSize: 0
; MemoryBound: 0
; FloatMode: 240
; IeeeMode: 1
; LDSByteSize: 0 bytes/workgroup (compile time only)
; SGPRBlocks: 4
; VGPRBlocks: 5
; NumSGPRsForWavesPerEU: 39
; NumVGPRsForWavesPerEU: 21
; Occupancy: 10
; WaveLimiterHint : 1
; COMPUTE_PGM_RSRC2:SCRATCH_EN: 0
; COMPUTE_PGM_RSRC2:USER_SGPR: 6
; COMPUTE_PGM_RSRC2:TRAP_HANDLER: 0
; COMPUTE_PGM_RSRC2:TGID_X_EN: 1
; COMPUTE_PGM_RSRC2:TGID_Y_EN: 0
; COMPUTE_PGM_RSRC2:TGID_Z_EN: 0
; COMPUTE_PGM_RSRC2:TIDIG_COMP_CNT: 0
	.section	.text._ZN9rocsparseL19bsrsv_upper_generalILj128ELj32ELb1E21rocsparse_complex_numIfEEEviNS_24const_host_device_scalarIT2_EEPKiS7_PKS4_iS9_PS4_PiSB_SB_21rocsparse_index_base_20rocsparse_diag_type_20rocsparse_direction_b,"axG",@progbits,_ZN9rocsparseL19bsrsv_upper_generalILj128ELj32ELb1E21rocsparse_complex_numIfEEEviNS_24const_host_device_scalarIT2_EEPKiS7_PKS4_iS9_PS4_PiSB_SB_21rocsparse_index_base_20rocsparse_diag_type_20rocsparse_direction_b,comdat
	.globl	_ZN9rocsparseL19bsrsv_upper_generalILj128ELj32ELb1E21rocsparse_complex_numIfEEEviNS_24const_host_device_scalarIT2_EEPKiS7_PKS4_iS9_PS4_PiSB_SB_21rocsparse_index_base_20rocsparse_diag_type_20rocsparse_direction_b ; -- Begin function _ZN9rocsparseL19bsrsv_upper_generalILj128ELj32ELb1E21rocsparse_complex_numIfEEEviNS_24const_host_device_scalarIT2_EEPKiS7_PKS4_iS9_PS4_PiSB_SB_21rocsparse_index_base_20rocsparse_diag_type_20rocsparse_direction_b
	.p2align	8
	.type	_ZN9rocsparseL19bsrsv_upper_generalILj128ELj32ELb1E21rocsparse_complex_numIfEEEviNS_24const_host_device_scalarIT2_EEPKiS7_PKS4_iS9_PS4_PiSB_SB_21rocsparse_index_base_20rocsparse_diag_type_20rocsparse_direction_b,@function
_ZN9rocsparseL19bsrsv_upper_generalILj128ELj32ELb1E21rocsparse_complex_numIfEEEviNS_24const_host_device_scalarIT2_EEPKiS7_PKS4_iS9_PS4_PiSB_SB_21rocsparse_index_base_20rocsparse_diag_type_20rocsparse_direction_b: ; @_ZN9rocsparseL19bsrsv_upper_generalILj128ELj32ELb1E21rocsparse_complex_numIfEEEviNS_24const_host_device_scalarIT2_EEPKiS7_PKS4_iS9_PS4_PiSB_SB_21rocsparse_index_base_20rocsparse_diag_type_20rocsparse_direction_b
; %bb.0:
	s_load_dwordx4 s[16:19], s[4:5], 0x58
	s_load_dwordx2 s[20:21], s[4:5], 0x8
	s_waitcnt lgkmcnt(0)
	s_bitcmp1_b32 s19, 0
	s_cselect_b64 s[2:3], -1, 0
	s_xor_b64 s[0:1], s[2:3], -1
	s_and_b64 vcc, exec, s[2:3]
	s_mov_b32 s19, s20
	s_cbranch_vccnz .LBB67_2
; %bb.1:
	s_load_dword s19, s[20:21], 0x0
.LBB67_2:
	s_andn2_b64 vcc, exec, s[0:1]
	s_cbranch_vccnz .LBB67_4
; %bb.3:
	s_load_dword s21, s[20:21], 0x4
.LBB67_4:
	s_nop 0
	s_load_dword s20, s[4:5], 0x0
	s_lshl_b32 s0, s6, 2
	v_lshrrev_b32_e32 v1, 5, v0
	s_and_b32 s0, s0, 0x7fffffc
	v_or_b32_e32 v1, s0, v1
	s_waitcnt lgkmcnt(0)
	v_cmp_gt_i32_e32 vcc, s20, v1
	s_and_saveexec_b64 s[0:1], vcc
	s_cbranch_execz .LBB67_49
; %bb.5:
	s_load_dwordx8 s[8:15], s[4:5], 0x38
	v_lshlrev_b32_e32 v1, 2, v1
	s_load_dword s33, s[4:5], 0x28
	v_and_b32_e32 v0, 31, v0
	s_waitcnt lgkmcnt(0)
	global_load_dword v1, v1, s[12:13]
	s_load_dwordx4 s[0:3], s[4:5], 0x10
	s_load_dwordx2 s[6:7], s[4:5], 0x20
	s_waitcnt lgkmcnt(0)
	v_mov_b32_e32 v5, s1
	s_waitcnt vmcnt(0)
	v_ashrrev_i32_e32 v2, 31, v1
	v_lshlrev_b64 v[2:3], 2, v[1:2]
	v_add_co_u32_e32 v4, vcc, s0, v2
	v_addc_co_u32_e32 v5, vcc, v5, v3, vcc
	global_load_dwordx2 v[4:5], v[4:5], off
	v_cmp_gt_i32_e64 s[0:1], s33, v0
	s_and_saveexec_b64 s[12:13], s[0:1]
	s_cbranch_execz .LBB67_8
; %bb.6:
	v_mad_u64_u32 v[6:7], s[22:23], v1, s33, v[0:1]
	s_load_dwordx2 s[4:5], s[4:5], 0x30
	v_mov_b32_e32 v10, s9
	v_ashrrev_i32_e32 v7, 31, v6
	v_lshlrev_b64 v[8:9], 3, v[6:7]
	s_waitcnt lgkmcnt(0)
	v_mov_b32_e32 v7, s5
	v_or_b32_e32 v8, 4, v8
	v_add_co_u32_e32 v6, vcc, s4, v8
	v_addc_co_u32_e32 v7, vcc, v7, v9, vcc
	v_add_co_u32_e32 v8, vcc, s8, v8
	v_addc_co_u32_e32 v9, vcc, v10, v9, vcc
	s_mov_b64 s[4:5], 0
	v_mov_b32_e32 v10, v0
.LBB67_7:                               ; =>This Inner Loop Header: Depth=1
	global_load_dwordx2 v[11:12], v[6:7], off offset:-4
	v_add_co_u32_e32 v6, vcc, 0x100, v6
	v_add_u32_e32 v10, 32, v10
	v_addc_co_u32_e32 v7, vcc, 0, v7, vcc
	v_cmp_le_i32_e32 vcc, s33, v10
	s_or_b64 s[4:5], vcc, s[4:5]
	s_waitcnt vmcnt(0)
	v_mul_f32_e64 v13, v12, -s21
	v_mul_f32_e32 v14, s19, v12
	v_fmac_f32_e32 v13, s19, v11
	v_fmac_f32_e32 v14, s21, v11
	global_store_dwordx2 v[8:9], v[13:14], off offset:-4
	v_add_co_u32_e32 v8, vcc, 0x100, v8
	v_addc_co_u32_e32 v9, vcc, 0, v9, vcc
	s_andn2_b64 exec, exec, s[4:5]
	s_cbranch_execnz .LBB67_7
.LBB67_8:
	s_or_b64 exec, exec, s[12:13]
	v_mul_lo_u32 v10, v1, s33
	s_waitcnt vmcnt(0)
	v_subrev_u32_e32 v9, s16, v4
	v_xad_u32 v4, s16, -1, v5
	v_cmp_ge_i32_e32 vcc, v4, v9
	v_mov_b32_e32 v5, s20
	s_and_saveexec_b64 s[4:5], vcc
	s_cbranch_execz .LBB67_28
; %bb.9:
	v_mad_u64_u32 v[5:6], s[12:13], s33, v4, v[0:1]
	s_cmp_lg_u32 s18, 0
	s_cselect_b64 s[12:13], -1, 0
	v_mul_lo_u32 v11, s33, v5
	s_mul_i32 s19, s33, s33
	s_lshl_b32 s34, s33, 5
	s_mov_b64 s[20:21], 0
	v_mov_b32_e32 v12, s3
                                        ; implicit-def: $sgpr22_sgpr23
	s_branch .LBB67_12
.LBB67_10:                              ;   in Loop: Header=BB67_12 Depth=1
	s_or_b64 exec, exec, s[26:27]
	v_cmp_le_i32_e32 vcc, v4, v9
	v_add_u32_e32 v6, -1, v4
	s_andn2_b64 s[22:23], s[22:23], exec
	s_and_b64 s[26:27], vcc, exec
	v_subrev_u32_e32 v11, s19, v11
	s_or_b64 s[22:23], s[22:23], s[26:27]
	v_mov_b32_e32 v4, v6
.LBB67_11:                              ;   in Loop: Header=BB67_12 Depth=1
	s_or_b64 exec, exec, s[24:25]
	s_and_b64 s[24:25], exec, s[22:23]
	s_or_b64 s[20:21], s[24:25], s[20:21]
	s_andn2_b64 exec, exec, s[20:21]
	s_cbranch_execz .LBB67_27
.LBB67_12:                              ; =>This Loop Header: Depth=1
                                        ;     Child Loop BB67_16 Depth 2
                                        ;       Child Loop BB67_17 Depth 3
                                        ;     Child Loop BB67_21 Depth 2
                                        ;       Child Loop BB67_23 Depth 3
	v_ashrrev_i32_e32 v5, 31, v4
	v_lshlrev_b64 v[5:6], 2, v[4:5]
	s_or_b64 s[22:23], s[22:23], exec
	v_add_co_u32_e32 v5, vcc, s2, v5
	v_addc_co_u32_e32 v6, vcc, v12, v6, vcc
	global_load_dword v5, v[5:6], off
	s_waitcnt vmcnt(0)
	v_subrev_u32_e32 v5, s16, v5
	v_cmp_gt_i32_e32 vcc, v5, v1
	s_and_saveexec_b64 s[24:25], vcc
	s_cbranch_execz .LBB67_11
; %bb.13:                               ;   in Loop: Header=BB67_12 Depth=1
	v_ashrrev_i32_e32 v6, 31, v5
	v_lshlrev_b64 v[6:7], 2, v[5:6]
	v_mov_b32_e32 v8, s11
	v_add_co_u32_e32 v6, vcc, s10, v6
	v_addc_co_u32_e32 v7, vcc, v8, v7, vcc
	global_load_dword v8, v[6:7], off glc
	s_waitcnt vmcnt(0)
	v_cmp_eq_u32_e32 vcc, 0, v8
	s_and_saveexec_b64 s[26:27], vcc
	s_cbranch_execz .LBB67_18
; %bb.14:                               ;   in Loop: Header=BB67_12 Depth=1
	s_mov_b32 s3, 0
	s_mov_b64 s[28:29], 0
	s_branch .LBB67_16
.LBB67_15:                              ;   in Loop: Header=BB67_16 Depth=2
	global_load_dword v8, v[6:7], off glc
	s_cmpk_lt_u32 s3, 0xf43
	s_cselect_b64 s[30:31], -1, 0
	s_cmp_lg_u64 s[30:31], 0
	s_addc_u32 s3, s3, 0
	s_waitcnt vmcnt(0)
	v_cmp_ne_u32_e32 vcc, 0, v8
	s_or_b64 s[28:29], vcc, s[28:29]
	s_andn2_b64 exec, exec, s[28:29]
	s_cbranch_execz .LBB67_18
.LBB67_16:                              ;   Parent Loop BB67_12 Depth=1
                                        ; =>  This Loop Header: Depth=2
                                        ;       Child Loop BB67_17 Depth 3
	s_cmp_eq_u32 s3, 0
	s_mov_b32 s30, s3
	s_cbranch_scc1 .LBB67_15
.LBB67_17:                              ;   Parent Loop BB67_12 Depth=1
                                        ;     Parent Loop BB67_16 Depth=2
                                        ; =>    This Inner Loop Header: Depth=3
	s_add_i32 s30, s30, -1
	s_cmp_eq_u32 s30, 0
	s_sleep 1
	s_cbranch_scc0 .LBB67_17
	s_branch .LBB67_15
.LBB67_18:                              ;   in Loop: Header=BB67_12 Depth=1
	s_or_b64 exec, exec, s[26:27]
	buffer_wbinvl1_vol
	s_and_saveexec_b64 s[26:27], s[0:1]
	s_cbranch_execz .LBB67_10
; %bb.19:                               ;   in Loop: Header=BB67_12 Depth=1
	v_mul_lo_u32 v13, v4, s33
	v_mul_lo_u32 v14, v5, s33
	s_mov_b64 s[28:29], 0
	v_mov_b32_e32 v15, v11
	v_mov_b32_e32 v6, v0
	s_branch .LBB67_21
.LBB67_20:                              ;   in Loop: Header=BB67_21 Depth=2
	v_add_u32_e32 v7, v6, v10
	v_ashrrev_i32_e32 v8, 31, v7
	v_lshlrev_b64 v[7:8], 3, v[7:8]
	v_mov_b32_e32 v18, s9
	v_add_co_u32_e32 v7, vcc, s8, v7
	v_addc_co_u32_e32 v8, vcc, v18, v8, vcc
	global_load_dwordx2 v[18:19], v[7:8], off
	v_add_u32_e32 v6, 32, v6
	v_cmp_le_i32_e32 vcc, s33, v6
	s_or_b64 s[28:29], vcc, s[28:29]
	v_add_u32_e32 v15, s34, v15
	s_waitcnt vmcnt(0)
	v_sub_f32_e32 v17, v18, v17
	v_sub_f32_e32 v18, v19, v16
	global_store_dwordx2 v[7:8], v[17:18], off
	s_andn2_b64 exec, exec, s[28:29]
	s_cbranch_execz .LBB67_10
.LBB67_21:                              ;   Parent Loop BB67_12 Depth=1
                                        ; =>  This Loop Header: Depth=2
                                        ;       Child Loop BB67_23 Depth 3
	v_mov_b32_e32 v16, 0
	s_mov_b32 s3, 0
	v_mov_b32_e32 v17, 0
	s_branch .LBB67_23
.LBB67_22:                              ;   in Loop: Header=BB67_23 Depth=3
	v_ashrrev_i32_e32 v8, 31, v7
	v_lshlrev_b64 v[7:8], 3, v[7:8]
	v_mov_b32_e32 v18, s7
	v_add_co_u32_e32 v7, vcc, s6, v7
	v_addc_co_u32_e32 v8, vcc, v18, v8, vcc
	v_add_u32_e32 v18, s3, v14
	v_ashrrev_i32_e32 v19, 31, v18
	v_lshlrev_b64 v[18:19], 3, v[18:19]
	v_mov_b32_e32 v20, s9
	v_add_co_u32_e32 v18, vcc, s8, v18
	v_addc_co_u32_e32 v19, vcc, v20, v19, vcc
	global_load_dwordx2 v[7:8], v[7:8], off
	s_add_i32 s3, s3, 1
	global_load_dwordx2 v[18:19], v[18:19], off
	s_cmp_eq_u32 s33, s3
	s_waitcnt vmcnt(0)
	v_fmac_f32_e32 v17, v7, v18
	v_fmac_f32_e32 v16, v8, v18
	v_fma_f32 v17, -v8, v19, v17
	v_fmac_f32_e32 v16, v7, v19
	s_cbranch_scc1 .LBB67_20
.LBB67_23:                              ;   Parent Loop BB67_12 Depth=1
                                        ;     Parent Loop BB67_21 Depth=2
                                        ; =>    This Inner Loop Header: Depth=3
	s_and_b64 vcc, exec, s[12:13]
	s_cbranch_vccz .LBB67_25
; %bb.24:                               ;   in Loop: Header=BB67_23 Depth=3
	v_add_u32_e32 v7, s3, v13
	v_mad_u64_u32 v[7:8], s[30:31], v7, s33, v[6:7]
	s_cbranch_execnz .LBB67_22
	s_branch .LBB67_26
.LBB67_25:                              ;   in Loop: Header=BB67_23 Depth=3
                                        ; implicit-def: $vgpr7
.LBB67_26:                              ;   in Loop: Header=BB67_23 Depth=3
	v_add_u32_e32 v7, s3, v15
	s_branch .LBB67_22
.LBB67_27:
	s_or_b64 exec, exec, s[20:21]
.LBB67_28:
	s_or_b64 exec, exec, s[4:5]
	s_cmp_gt_i32 s33, 0
	v_cmp_eq_u32_e32 vcc, v5, v1
	s_cselect_b64 s[0:1], -1, 0
	s_and_b64 s[2:3], s[0:1], vcc
	s_mov_b64 s[0:1], 0
	s_and_saveexec_b64 s[4:5], s[2:3]
	s_cbranch_execz .LBB67_43
; %bb.29:
	v_mul_lo_u32 v11, v4, s33
	s_cmp_eq_u32 s17, 0
	s_cselect_b64 s[0:1], -1, 0
	s_cmp_lg_u32 s18, 0
	v_add_u32_e32 v4, v11, v0
	v_mul_lo_u32 v4, s33, v4
	v_ashrrev_i32_e32 v12, 31, v10
	s_cselect_b64 s[12:13], -1, 0
	s_lshl_b32 s17, s33, 5
	v_add3_u32 v13, v4, s33, -1
	v_cndmask_b32_e64 v4, 0, 1, s[0:1]
	s_mov_b64 s[20:21], 0
	v_cmp_ne_u32_e64 s[0:1], 1, v4
	v_mov_b32_e32 v14, s9
                                        ; implicit-def: $sgpr18_sgpr19
	s_mov_b32 s22, s33
	s_and_b64 vcc, exec, s[0:1]
	s_add_i32 s23, s22, -1
	s_cbranch_vccz .LBB67_31
.LBB67_30:
	v_mov_b32_e32 v7, 0
	v_mov_b32_e32 v6, 1.0
	s_branch .LBB67_32
.LBB67_31:
	s_waitcnt vmcnt(0)
	v_add_u32_e32 v4, s23, v11
	v_mul_lo_u32 v4, v4, s33
	v_mov_b32_e32 v6, s7
	v_add_u32_e32 v4, s23, v4
	v_ashrrev_i32_e32 v5, 31, v4
	v_lshlrev_b64 v[4:5], 3, v[4:5]
	v_add_co_u32_e32 v4, vcc, s6, v4
	v_addc_co_u32_e32 v5, vcc, v6, v5, vcc
	global_load_dwordx2 v[6:7], v[4:5], off
.LBB67_32:
	s_ashr_i32 s2, s22, 31
	s_waitcnt vmcnt(0)
	v_mov_b32_e32 v5, s2
	v_add_co_u32_e32 v4, vcc, s22, v10
	v_addc_co_u32_e32 v5, vcc, v5, v12, vcc
	v_lshlrev_b64 v[4:5], 3, v[4:5]
	s_waitcnt vmcnt(0)
	v_cmp_neq_f32_e64 s[2:3], 0, v7
	v_add_co_u32_e32 v8, vcc, s8, v4
	v_addc_co_u32_e32 v9, vcc, v14, v5, vcc
	global_load_dwordx2 v[4:5], v[8:9], off offset:-8
	v_cmp_neq_f32_e32 vcc, 0, v6
	s_or_b64 s[24:25], vcc, s[2:3]
	s_or_b64 s[18:19], s[18:19], exec
	s_and_saveexec_b64 s[2:3], s[24:25]
	s_cbranch_execz .LBB67_34
; %bb.33:
	v_mul_f32_e32 v15, v7, v7
	v_fmac_f32_e32 v15, v6, v6
	v_div_scale_f32 v16, s[24:25], v15, v15, 1.0
	v_div_scale_f32 v17, vcc, 1.0, v15, 1.0
	s_andn2_b64 s[18:19], s[18:19], exec
	s_and_b64 s[20:21], s[20:21], exec
	s_or_b64 s[18:19], s[18:19], s[20:21]
	v_rcp_f32_e32 v18, v16
	v_fma_f32 v19, -v16, v18, 1.0
	v_fmac_f32_e32 v18, v19, v18
	v_mul_f32_e32 v19, v17, v18
	v_fma_f32 v20, -v16, v19, v17
	v_fmac_f32_e32 v19, v20, v18
	v_fma_f32 v16, -v16, v19, v17
	v_div_fmas_f32 v16, v16, v18, v19
	s_waitcnt vmcnt(0)
	v_mul_f32_e32 v17, v7, v5
	v_mul_f32_e64 v7, v7, -v4
	v_fmac_f32_e32 v17, v4, v6
	v_fmac_f32_e32 v7, v5, v6
	v_div_fixup_f32 v5, v16, v15, 1.0
	v_mul_f32_e32 v4, v5, v17
	v_mul_f32_e32 v5, v5, v7
	global_store_dwordx2 v[8:9], v[4:5], off offset:-8
.LBB67_34:
	s_or_b64 exec, exec, s[2:3]
	v_cmp_gt_i32_e32 vcc, s23, v0
	s_and_saveexec_b64 s[2:3], vcc
	s_cbranch_execz .LBB67_39
; %bb.35:
	v_add_u32_e32 v6, s23, v11
	v_mul_lo_u32 v8, v6, s33
	s_mov_b64 s[20:21], 0
	v_mov_b32_e32 v9, v13
	v_mov_b32_e32 v15, v0
	s_branch .LBB67_37
.LBB67_36:                              ;   in Loop: Header=BB67_37 Depth=1
	v_ashrrev_i32_e32 v7, 31, v6
	v_lshlrev_b64 v[6:7], 3, v[6:7]
	v_mov_b32_e32 v16, s7
	v_add_co_u32_e32 v6, vcc, s6, v6
	v_addc_co_u32_e32 v7, vcc, v16, v7, vcc
	v_add_u32_e32 v16, v10, v15
	v_ashrrev_i32_e32 v17, 31, v16
	v_lshlrev_b64 v[16:17], 3, v[16:17]
	global_load_dwordx2 v[6:7], v[6:7], off
	v_mov_b32_e32 v18, s9
	v_add_co_u32_e32 v16, vcc, s8, v16
	v_addc_co_u32_e32 v17, vcc, v18, v17, vcc
	global_load_dwordx2 v[18:19], v[16:17], off
	v_add_u32_e32 v15, 32, v15
	v_cmp_le_i32_e32 vcc, s23, v15
	s_or_b64 s[20:21], vcc, s[20:21]
	v_add_u32_e32 v9, s17, v9
	s_waitcnt vmcnt(1)
	v_mul_f32_e64 v20, v7, -v5
	v_mul_f32_e32 v7, v4, v7
	v_fmac_f32_e32 v20, v4, v6
	v_fmac_f32_e32 v7, v5, v6
	s_waitcnt vmcnt(0)
	v_sub_f32_e32 v6, v18, v20
	v_sub_f32_e32 v7, v19, v7
	global_store_dwordx2 v[16:17], v[6:7], off
	s_andn2_b64 exec, exec, s[20:21]
	s_cbranch_execz .LBB67_39
.LBB67_37:                              ; =>This Inner Loop Header: Depth=1
	s_andn2_b64 vcc, exec, s[12:13]
	v_mov_b32_e32 v6, v9
	s_cbranch_vccnz .LBB67_36
; %bb.38:                               ;   in Loop: Header=BB67_37 Depth=1
	v_add_u32_e32 v6, v15, v8
	s_branch .LBB67_36
.LBB67_39:
	s_or_b64 exec, exec, s[2:3]
; %bb.40:
	s_cmp_lt_i32 s22, 2
	v_add_u32_e32 v13, -1, v13
	s_cbranch_scc1 .LBB67_42
; %bb.41:
	s_mov_b64 s[20:21], s[18:19]
	s_mov_b32 s22, s23
	s_and_b64 vcc, exec, s[0:1]
	s_add_i32 s23, s22, -1
	s_cbranch_vccnz .LBB67_30
	s_branch .LBB67_31
.LBB67_42:
	s_and_b64 s[0:1], s[18:19], exec
.LBB67_43:
	s_or_b64 exec, exec, s[4:5]
	v_cmp_eq_u32_e32 vcc, 0, v0
	s_and_b64 exec, exec, vcc
	s_cbranch_execz .LBB67_49
; %bb.44:
	v_mov_b32_e32 v0, s11
	v_add_co_u32_e32 v2, vcc, s10, v2
	v_addc_co_u32_e32 v3, vcc, v0, v3, vcc
	v_mov_b32_e32 v0, 1
	s_waitcnt vmcnt(0)
	global_store_dword v[2:3], v0, off
	s_and_b64 exec, exec, s[0:1]
	s_cbranch_execz .LBB67_49
; %bb.45:
	s_mov_b64 s[0:1], exec
	v_add_u32_e32 v0, s16, v1
	s_brev_b32 s2, -2
.LBB67_46:                              ; =>This Inner Loop Header: Depth=1
	s_ff1_i32_b64 s3, s[0:1]
	v_readlane_b32 s6, v0, s3
	s_lshl_b64 s[4:5], 1, s3
	s_min_i32 s2, s2, s6
	s_andn2_b64 s[0:1], s[0:1], s[4:5]
	s_cmp_lg_u64 s[0:1], 0
	s_cbranch_scc1 .LBB67_46
; %bb.47:
	v_mbcnt_lo_u32_b32 v0, exec_lo, 0
	v_mbcnt_hi_u32_b32 v0, exec_hi, v0
	v_cmp_eq_u32_e32 vcc, 0, v0
	s_and_saveexec_b64 s[0:1], vcc
	s_xor_b64 s[0:1], exec, s[0:1]
	s_cbranch_execz .LBB67_49
; %bb.48:
	v_mov_b32_e32 v0, 0
	v_mov_b32_e32 v1, s2
	global_atomic_smin v0, v1, s[14:15]
.LBB67_49:
	s_endpgm
	.section	.rodata,"a",@progbits
	.p2align	6, 0x0
	.amdhsa_kernel _ZN9rocsparseL19bsrsv_upper_generalILj128ELj32ELb1E21rocsparse_complex_numIfEEEviNS_24const_host_device_scalarIT2_EEPKiS7_PKS4_iS9_PS4_PiSB_SB_21rocsparse_index_base_20rocsparse_diag_type_20rocsparse_direction_b
		.amdhsa_group_segment_fixed_size 0
		.amdhsa_private_segment_fixed_size 0
		.amdhsa_kernarg_size 104
		.amdhsa_user_sgpr_count 6
		.amdhsa_user_sgpr_private_segment_buffer 1
		.amdhsa_user_sgpr_dispatch_ptr 0
		.amdhsa_user_sgpr_queue_ptr 0
		.amdhsa_user_sgpr_kernarg_segment_ptr 1
		.amdhsa_user_sgpr_dispatch_id 0
		.amdhsa_user_sgpr_flat_scratch_init 0
		.amdhsa_user_sgpr_private_segment_size 0
		.amdhsa_uses_dynamic_stack 0
		.amdhsa_system_sgpr_private_segment_wavefront_offset 0
		.amdhsa_system_sgpr_workgroup_id_x 1
		.amdhsa_system_sgpr_workgroup_id_y 0
		.amdhsa_system_sgpr_workgroup_id_z 0
		.amdhsa_system_sgpr_workgroup_info 0
		.amdhsa_system_vgpr_workitem_id 0
		.amdhsa_next_free_vgpr 21
		.amdhsa_next_free_sgpr 35
		.amdhsa_reserve_vcc 1
		.amdhsa_reserve_flat_scratch 0
		.amdhsa_float_round_mode_32 0
		.amdhsa_float_round_mode_16_64 0
		.amdhsa_float_denorm_mode_32 3
		.amdhsa_float_denorm_mode_16_64 3
		.amdhsa_dx10_clamp 1
		.amdhsa_ieee_mode 1
		.amdhsa_fp16_overflow 0
		.amdhsa_exception_fp_ieee_invalid_op 0
		.amdhsa_exception_fp_denorm_src 0
		.amdhsa_exception_fp_ieee_div_zero 0
		.amdhsa_exception_fp_ieee_overflow 0
		.amdhsa_exception_fp_ieee_underflow 0
		.amdhsa_exception_fp_ieee_inexact 0
		.amdhsa_exception_int_div_zero 0
	.end_amdhsa_kernel
	.section	.text._ZN9rocsparseL19bsrsv_upper_generalILj128ELj32ELb1E21rocsparse_complex_numIfEEEviNS_24const_host_device_scalarIT2_EEPKiS7_PKS4_iS9_PS4_PiSB_SB_21rocsparse_index_base_20rocsparse_diag_type_20rocsparse_direction_b,"axG",@progbits,_ZN9rocsparseL19bsrsv_upper_generalILj128ELj32ELb1E21rocsparse_complex_numIfEEEviNS_24const_host_device_scalarIT2_EEPKiS7_PKS4_iS9_PS4_PiSB_SB_21rocsparse_index_base_20rocsparse_diag_type_20rocsparse_direction_b,comdat
.Lfunc_end67:
	.size	_ZN9rocsparseL19bsrsv_upper_generalILj128ELj32ELb1E21rocsparse_complex_numIfEEEviNS_24const_host_device_scalarIT2_EEPKiS7_PKS4_iS9_PS4_PiSB_SB_21rocsparse_index_base_20rocsparse_diag_type_20rocsparse_direction_b, .Lfunc_end67-_ZN9rocsparseL19bsrsv_upper_generalILj128ELj32ELb1E21rocsparse_complex_numIfEEEviNS_24const_host_device_scalarIT2_EEPKiS7_PKS4_iS9_PS4_PiSB_SB_21rocsparse_index_base_20rocsparse_diag_type_20rocsparse_direction_b
                                        ; -- End function
	.set _ZN9rocsparseL19bsrsv_upper_generalILj128ELj32ELb1E21rocsparse_complex_numIfEEEviNS_24const_host_device_scalarIT2_EEPKiS7_PKS4_iS9_PS4_PiSB_SB_21rocsparse_index_base_20rocsparse_diag_type_20rocsparse_direction_b.num_vgpr, 21
	.set _ZN9rocsparseL19bsrsv_upper_generalILj128ELj32ELb1E21rocsparse_complex_numIfEEEviNS_24const_host_device_scalarIT2_EEPKiS7_PKS4_iS9_PS4_PiSB_SB_21rocsparse_index_base_20rocsparse_diag_type_20rocsparse_direction_b.num_agpr, 0
	.set _ZN9rocsparseL19bsrsv_upper_generalILj128ELj32ELb1E21rocsparse_complex_numIfEEEviNS_24const_host_device_scalarIT2_EEPKiS7_PKS4_iS9_PS4_PiSB_SB_21rocsparse_index_base_20rocsparse_diag_type_20rocsparse_direction_b.numbered_sgpr, 35
	.set _ZN9rocsparseL19bsrsv_upper_generalILj128ELj32ELb1E21rocsparse_complex_numIfEEEviNS_24const_host_device_scalarIT2_EEPKiS7_PKS4_iS9_PS4_PiSB_SB_21rocsparse_index_base_20rocsparse_diag_type_20rocsparse_direction_b.num_named_barrier, 0
	.set _ZN9rocsparseL19bsrsv_upper_generalILj128ELj32ELb1E21rocsparse_complex_numIfEEEviNS_24const_host_device_scalarIT2_EEPKiS7_PKS4_iS9_PS4_PiSB_SB_21rocsparse_index_base_20rocsparse_diag_type_20rocsparse_direction_b.private_seg_size, 0
	.set _ZN9rocsparseL19bsrsv_upper_generalILj128ELj32ELb1E21rocsparse_complex_numIfEEEviNS_24const_host_device_scalarIT2_EEPKiS7_PKS4_iS9_PS4_PiSB_SB_21rocsparse_index_base_20rocsparse_diag_type_20rocsparse_direction_b.uses_vcc, 1
	.set _ZN9rocsparseL19bsrsv_upper_generalILj128ELj32ELb1E21rocsparse_complex_numIfEEEviNS_24const_host_device_scalarIT2_EEPKiS7_PKS4_iS9_PS4_PiSB_SB_21rocsparse_index_base_20rocsparse_diag_type_20rocsparse_direction_b.uses_flat_scratch, 0
	.set _ZN9rocsparseL19bsrsv_upper_generalILj128ELj32ELb1E21rocsparse_complex_numIfEEEviNS_24const_host_device_scalarIT2_EEPKiS7_PKS4_iS9_PS4_PiSB_SB_21rocsparse_index_base_20rocsparse_diag_type_20rocsparse_direction_b.has_dyn_sized_stack, 0
	.set _ZN9rocsparseL19bsrsv_upper_generalILj128ELj32ELb1E21rocsparse_complex_numIfEEEviNS_24const_host_device_scalarIT2_EEPKiS7_PKS4_iS9_PS4_PiSB_SB_21rocsparse_index_base_20rocsparse_diag_type_20rocsparse_direction_b.has_recursion, 0
	.set _ZN9rocsparseL19bsrsv_upper_generalILj128ELj32ELb1E21rocsparse_complex_numIfEEEviNS_24const_host_device_scalarIT2_EEPKiS7_PKS4_iS9_PS4_PiSB_SB_21rocsparse_index_base_20rocsparse_diag_type_20rocsparse_direction_b.has_indirect_call, 0
	.section	.AMDGPU.csdata,"",@progbits
; Kernel info:
; codeLenInByte = 1784
; TotalNumSgprs: 39
; NumVgprs: 21
; ScratchSize: 0
; MemoryBound: 0
; FloatMode: 240
; IeeeMode: 1
; LDSByteSize: 0 bytes/workgroup (compile time only)
; SGPRBlocks: 4
; VGPRBlocks: 5
; NumSGPRsForWavesPerEU: 39
; NumVGPRsForWavesPerEU: 21
; Occupancy: 10
; WaveLimiterHint : 1
; COMPUTE_PGM_RSRC2:SCRATCH_EN: 0
; COMPUTE_PGM_RSRC2:USER_SGPR: 6
; COMPUTE_PGM_RSRC2:TRAP_HANDLER: 0
; COMPUTE_PGM_RSRC2:TGID_X_EN: 1
; COMPUTE_PGM_RSRC2:TGID_Y_EN: 0
; COMPUTE_PGM_RSRC2:TGID_Z_EN: 0
; COMPUTE_PGM_RSRC2:TIDIG_COMP_CNT: 0
	.section	.text._ZN9rocsparseL19bsrsv_upper_generalILj128ELj32ELb0E21rocsparse_complex_numIfEEEviNS_24const_host_device_scalarIT2_EEPKiS7_PKS4_iS9_PS4_PiSB_SB_21rocsparse_index_base_20rocsparse_diag_type_20rocsparse_direction_b,"axG",@progbits,_ZN9rocsparseL19bsrsv_upper_generalILj128ELj32ELb0E21rocsparse_complex_numIfEEEviNS_24const_host_device_scalarIT2_EEPKiS7_PKS4_iS9_PS4_PiSB_SB_21rocsparse_index_base_20rocsparse_diag_type_20rocsparse_direction_b,comdat
	.globl	_ZN9rocsparseL19bsrsv_upper_generalILj128ELj32ELb0E21rocsparse_complex_numIfEEEviNS_24const_host_device_scalarIT2_EEPKiS7_PKS4_iS9_PS4_PiSB_SB_21rocsparse_index_base_20rocsparse_diag_type_20rocsparse_direction_b ; -- Begin function _ZN9rocsparseL19bsrsv_upper_generalILj128ELj32ELb0E21rocsparse_complex_numIfEEEviNS_24const_host_device_scalarIT2_EEPKiS7_PKS4_iS9_PS4_PiSB_SB_21rocsparse_index_base_20rocsparse_diag_type_20rocsparse_direction_b
	.p2align	8
	.type	_ZN9rocsparseL19bsrsv_upper_generalILj128ELj32ELb0E21rocsparse_complex_numIfEEEviNS_24const_host_device_scalarIT2_EEPKiS7_PKS4_iS9_PS4_PiSB_SB_21rocsparse_index_base_20rocsparse_diag_type_20rocsparse_direction_b,@function
_ZN9rocsparseL19bsrsv_upper_generalILj128ELj32ELb0E21rocsparse_complex_numIfEEEviNS_24const_host_device_scalarIT2_EEPKiS7_PKS4_iS9_PS4_PiSB_SB_21rocsparse_index_base_20rocsparse_diag_type_20rocsparse_direction_b: ; @_ZN9rocsparseL19bsrsv_upper_generalILj128ELj32ELb0E21rocsparse_complex_numIfEEEviNS_24const_host_device_scalarIT2_EEPKiS7_PKS4_iS9_PS4_PiSB_SB_21rocsparse_index_base_20rocsparse_diag_type_20rocsparse_direction_b
; %bb.0:
	s_load_dwordx4 s[16:19], s[4:5], 0x58
	s_load_dwordx2 s[20:21], s[4:5], 0x8
	s_waitcnt lgkmcnt(0)
	s_bitcmp1_b32 s19, 0
	s_cselect_b64 s[2:3], -1, 0
	s_xor_b64 s[0:1], s[2:3], -1
	s_and_b64 vcc, exec, s[2:3]
	s_mov_b32 s19, s20
	s_cbranch_vccnz .LBB68_2
; %bb.1:
	s_load_dword s19, s[20:21], 0x0
.LBB68_2:
	s_andn2_b64 vcc, exec, s[0:1]
	s_cbranch_vccnz .LBB68_4
; %bb.3:
	s_load_dword s21, s[20:21], 0x4
.LBB68_4:
	s_nop 0
	s_load_dword s20, s[4:5], 0x0
	s_lshl_b32 s0, s6, 2
	v_lshrrev_b32_e32 v1, 5, v0
	s_and_b32 s0, s0, 0x7fffffc
	v_or_b32_e32 v1, s0, v1
	s_waitcnt lgkmcnt(0)
	v_cmp_gt_i32_e32 vcc, s20, v1
	s_and_saveexec_b64 s[0:1], vcc
	s_cbranch_execz .LBB68_47
; %bb.5:
	s_load_dwordx8 s[8:15], s[4:5], 0x38
	v_lshlrev_b32_e32 v1, 2, v1
	s_load_dword s33, s[4:5], 0x28
	v_and_b32_e32 v0, 31, v0
	s_waitcnt lgkmcnt(0)
	global_load_dword v1, v1, s[12:13]
	s_load_dwordx4 s[0:3], s[4:5], 0x10
	s_load_dwordx2 s[6:7], s[4:5], 0x20
	s_waitcnt lgkmcnt(0)
	v_mov_b32_e32 v5, s1
	s_waitcnt vmcnt(0)
	v_ashrrev_i32_e32 v2, 31, v1
	v_lshlrev_b64 v[2:3], 2, v[1:2]
	v_add_co_u32_e32 v4, vcc, s0, v2
	v_addc_co_u32_e32 v5, vcc, v5, v3, vcc
	global_load_dwordx2 v[4:5], v[4:5], off
	v_cmp_gt_i32_e64 s[0:1], s33, v0
	s_and_saveexec_b64 s[12:13], s[0:1]
	s_cbranch_execz .LBB68_8
; %bb.6:
	v_mad_u64_u32 v[6:7], s[22:23], v1, s33, v[0:1]
	s_load_dwordx2 s[4:5], s[4:5], 0x30
	v_mov_b32_e32 v10, s9
	v_ashrrev_i32_e32 v7, 31, v6
	v_lshlrev_b64 v[8:9], 3, v[6:7]
	s_waitcnt lgkmcnt(0)
	v_mov_b32_e32 v7, s5
	v_or_b32_e32 v8, 4, v8
	v_add_co_u32_e32 v6, vcc, s4, v8
	v_addc_co_u32_e32 v7, vcc, v7, v9, vcc
	v_add_co_u32_e32 v8, vcc, s8, v8
	v_addc_co_u32_e32 v9, vcc, v10, v9, vcc
	s_mov_b64 s[4:5], 0
	v_mov_b32_e32 v10, v0
.LBB68_7:                               ; =>This Inner Loop Header: Depth=1
	global_load_dwordx2 v[11:12], v[6:7], off offset:-4
	v_add_co_u32_e32 v6, vcc, 0x100, v6
	v_add_u32_e32 v10, 32, v10
	v_addc_co_u32_e32 v7, vcc, 0, v7, vcc
	v_cmp_le_i32_e32 vcc, s33, v10
	s_or_b64 s[4:5], vcc, s[4:5]
	s_waitcnt vmcnt(0)
	v_mul_f32_e64 v13, v12, -s21
	v_mul_f32_e32 v14, s19, v12
	v_fmac_f32_e32 v13, s19, v11
	v_fmac_f32_e32 v14, s21, v11
	global_store_dwordx2 v[8:9], v[13:14], off offset:-4
	v_add_co_u32_e32 v8, vcc, 0x100, v8
	v_addc_co_u32_e32 v9, vcc, 0, v9, vcc
	s_andn2_b64 exec, exec, s[4:5]
	s_cbranch_execnz .LBB68_7
.LBB68_8:
	s_or_b64 exec, exec, s[12:13]
	v_mul_lo_u32 v10, v1, s33
	s_waitcnt vmcnt(0)
	v_subrev_u32_e32 v9, s16, v4
	v_xad_u32 v4, s16, -1, v5
	v_cmp_ge_i32_e32 vcc, v4, v9
	v_mov_b32_e32 v5, s20
	s_and_saveexec_b64 s[4:5], vcc
	s_cbranch_execz .LBB68_26
; %bb.9:
	v_mad_u64_u32 v[5:6], s[12:13], s33, v4, v[0:1]
	s_cmp_lg_u32 s18, 0
	s_cselect_b64 s[12:13], -1, 0
	v_mul_lo_u32 v11, s33, v5
	s_mul_i32 s19, s33, s33
	s_lshl_b32 s34, s33, 5
	s_mov_b64 s[20:21], 0
	v_mov_b32_e32 v12, s3
                                        ; implicit-def: $sgpr22_sgpr23
	s_branch .LBB68_12
.LBB68_10:                              ;   in Loop: Header=BB68_12 Depth=1
	s_or_b64 exec, exec, s[26:27]
	v_cmp_le_i32_e32 vcc, v4, v9
	v_add_u32_e32 v6, -1, v4
	s_andn2_b64 s[22:23], s[22:23], exec
	s_and_b64 s[26:27], vcc, exec
	v_subrev_u32_e32 v11, s19, v11
	s_or_b64 s[22:23], s[22:23], s[26:27]
	v_mov_b32_e32 v4, v6
.LBB68_11:                              ;   in Loop: Header=BB68_12 Depth=1
	s_or_b64 exec, exec, s[24:25]
	s_and_b64 s[24:25], exec, s[22:23]
	s_or_b64 s[20:21], s[24:25], s[20:21]
	s_andn2_b64 exec, exec, s[20:21]
	s_cbranch_execz .LBB68_25
.LBB68_12:                              ; =>This Loop Header: Depth=1
                                        ;     Child Loop BB68_15 Depth 2
                                        ;     Child Loop BB68_19 Depth 2
                                        ;       Child Loop BB68_21 Depth 3
	v_ashrrev_i32_e32 v5, 31, v4
	v_lshlrev_b64 v[5:6], 2, v[4:5]
	s_or_b64 s[22:23], s[22:23], exec
	v_add_co_u32_e32 v5, vcc, s2, v5
	v_addc_co_u32_e32 v6, vcc, v12, v6, vcc
	global_load_dword v5, v[5:6], off
	s_waitcnt vmcnt(0)
	v_subrev_u32_e32 v5, s16, v5
	v_cmp_gt_i32_e32 vcc, v5, v1
	s_and_saveexec_b64 s[24:25], vcc
	s_cbranch_execz .LBB68_11
; %bb.13:                               ;   in Loop: Header=BB68_12 Depth=1
	v_ashrrev_i32_e32 v6, 31, v5
	v_lshlrev_b64 v[6:7], 2, v[5:6]
	v_mov_b32_e32 v8, s11
	v_add_co_u32_e32 v6, vcc, s10, v6
	v_addc_co_u32_e32 v7, vcc, v8, v7, vcc
	global_load_dword v8, v[6:7], off glc
	s_waitcnt vmcnt(0)
	v_cmp_eq_u32_e32 vcc, 0, v8
	s_and_saveexec_b64 s[26:27], vcc
	s_cbranch_execz .LBB68_16
; %bb.14:                               ;   in Loop: Header=BB68_12 Depth=1
	s_mov_b64 s[28:29], 0
.LBB68_15:                              ;   Parent Loop BB68_12 Depth=1
                                        ; =>  This Inner Loop Header: Depth=2
	global_load_dword v8, v[6:7], off glc
	s_waitcnt vmcnt(0)
	v_cmp_ne_u32_e32 vcc, 0, v8
	s_or_b64 s[28:29], vcc, s[28:29]
	s_andn2_b64 exec, exec, s[28:29]
	s_cbranch_execnz .LBB68_15
.LBB68_16:                              ;   in Loop: Header=BB68_12 Depth=1
	s_or_b64 exec, exec, s[26:27]
	buffer_wbinvl1_vol
	s_and_saveexec_b64 s[26:27], s[0:1]
	s_cbranch_execz .LBB68_10
; %bb.17:                               ;   in Loop: Header=BB68_12 Depth=1
	v_mul_lo_u32 v13, v4, s33
	v_mul_lo_u32 v14, v5, s33
	s_mov_b64 s[28:29], 0
	v_mov_b32_e32 v15, v11
	v_mov_b32_e32 v6, v0
	s_branch .LBB68_19
.LBB68_18:                              ;   in Loop: Header=BB68_19 Depth=2
	v_add_u32_e32 v7, v6, v10
	v_ashrrev_i32_e32 v8, 31, v7
	v_lshlrev_b64 v[7:8], 3, v[7:8]
	v_mov_b32_e32 v18, s9
	v_add_co_u32_e32 v7, vcc, s8, v7
	v_addc_co_u32_e32 v8, vcc, v18, v8, vcc
	global_load_dwordx2 v[18:19], v[7:8], off
	v_add_u32_e32 v6, 32, v6
	v_cmp_le_i32_e32 vcc, s33, v6
	s_or_b64 s[28:29], vcc, s[28:29]
	v_add_u32_e32 v15, s34, v15
	s_waitcnt vmcnt(0)
	v_sub_f32_e32 v17, v18, v17
	v_sub_f32_e32 v18, v19, v16
	global_store_dwordx2 v[7:8], v[17:18], off
	s_andn2_b64 exec, exec, s[28:29]
	s_cbranch_execz .LBB68_10
.LBB68_19:                              ;   Parent Loop BB68_12 Depth=1
                                        ; =>  This Loop Header: Depth=2
                                        ;       Child Loop BB68_21 Depth 3
	v_mov_b32_e32 v16, 0
	s_mov_b32 s3, 0
	v_mov_b32_e32 v17, 0
	s_branch .LBB68_21
.LBB68_20:                              ;   in Loop: Header=BB68_21 Depth=3
	v_ashrrev_i32_e32 v8, 31, v7
	v_lshlrev_b64 v[7:8], 3, v[7:8]
	v_mov_b32_e32 v18, s7
	v_add_co_u32_e32 v7, vcc, s6, v7
	v_addc_co_u32_e32 v8, vcc, v18, v8, vcc
	v_add_u32_e32 v18, s3, v14
	v_ashrrev_i32_e32 v19, 31, v18
	v_lshlrev_b64 v[18:19], 3, v[18:19]
	v_mov_b32_e32 v20, s9
	v_add_co_u32_e32 v18, vcc, s8, v18
	v_addc_co_u32_e32 v19, vcc, v20, v19, vcc
	global_load_dwordx2 v[7:8], v[7:8], off
	s_add_i32 s3, s3, 1
	global_load_dwordx2 v[18:19], v[18:19], off
	s_cmp_eq_u32 s33, s3
	s_waitcnt vmcnt(0)
	v_fmac_f32_e32 v17, v7, v18
	v_fmac_f32_e32 v16, v8, v18
	v_fma_f32 v17, -v8, v19, v17
	v_fmac_f32_e32 v16, v7, v19
	s_cbranch_scc1 .LBB68_18
.LBB68_21:                              ;   Parent Loop BB68_12 Depth=1
                                        ;     Parent Loop BB68_19 Depth=2
                                        ; =>    This Inner Loop Header: Depth=3
	s_and_b64 vcc, exec, s[12:13]
	s_cbranch_vccz .LBB68_23
; %bb.22:                               ;   in Loop: Header=BB68_21 Depth=3
	v_add_u32_e32 v7, s3, v13
	v_mad_u64_u32 v[7:8], s[30:31], v7, s33, v[6:7]
	s_cbranch_execnz .LBB68_20
	s_branch .LBB68_24
.LBB68_23:                              ;   in Loop: Header=BB68_21 Depth=3
                                        ; implicit-def: $vgpr7
.LBB68_24:                              ;   in Loop: Header=BB68_21 Depth=3
	v_add_u32_e32 v7, s3, v15
	s_branch .LBB68_20
.LBB68_25:
	s_or_b64 exec, exec, s[20:21]
.LBB68_26:
	s_or_b64 exec, exec, s[4:5]
	s_cmp_gt_i32 s33, 0
	v_cmp_eq_u32_e32 vcc, v5, v1
	s_cselect_b64 s[0:1], -1, 0
	s_and_b64 s[2:3], s[0:1], vcc
	s_mov_b64 s[0:1], 0
	s_and_saveexec_b64 s[4:5], s[2:3]
	s_cbranch_execz .LBB68_41
; %bb.27:
	v_mul_lo_u32 v11, v4, s33
	s_cmp_eq_u32 s17, 0
	s_cselect_b64 s[0:1], -1, 0
	s_cmp_lg_u32 s18, 0
	v_add_u32_e32 v4, v11, v0
	v_mul_lo_u32 v4, s33, v4
	v_ashrrev_i32_e32 v12, 31, v10
	s_cselect_b64 s[12:13], -1, 0
	s_lshl_b32 s17, s33, 5
	v_add3_u32 v13, v4, s33, -1
	v_cndmask_b32_e64 v4, 0, 1, s[0:1]
	s_mov_b64 s[20:21], 0
	v_cmp_ne_u32_e64 s[0:1], 1, v4
	v_mov_b32_e32 v14, s9
                                        ; implicit-def: $sgpr18_sgpr19
	s_mov_b32 s22, s33
	s_and_b64 vcc, exec, s[0:1]
	s_add_i32 s23, s22, -1
	s_cbranch_vccz .LBB68_29
.LBB68_28:
	v_mov_b32_e32 v7, 0
	v_mov_b32_e32 v6, 1.0
	s_branch .LBB68_30
.LBB68_29:
	s_waitcnt vmcnt(0)
	v_add_u32_e32 v4, s23, v11
	v_mul_lo_u32 v4, v4, s33
	v_mov_b32_e32 v6, s7
	v_add_u32_e32 v4, s23, v4
	v_ashrrev_i32_e32 v5, 31, v4
	v_lshlrev_b64 v[4:5], 3, v[4:5]
	v_add_co_u32_e32 v4, vcc, s6, v4
	v_addc_co_u32_e32 v5, vcc, v6, v5, vcc
	global_load_dwordx2 v[6:7], v[4:5], off
.LBB68_30:
	s_ashr_i32 s2, s22, 31
	s_waitcnt vmcnt(0)
	v_mov_b32_e32 v5, s2
	v_add_co_u32_e32 v4, vcc, s22, v10
	v_addc_co_u32_e32 v5, vcc, v5, v12, vcc
	v_lshlrev_b64 v[4:5], 3, v[4:5]
	s_waitcnt vmcnt(0)
	v_cmp_neq_f32_e64 s[2:3], 0, v7
	v_add_co_u32_e32 v8, vcc, s8, v4
	v_addc_co_u32_e32 v9, vcc, v14, v5, vcc
	global_load_dwordx2 v[4:5], v[8:9], off offset:-8
	v_cmp_neq_f32_e32 vcc, 0, v6
	s_or_b64 s[24:25], vcc, s[2:3]
	s_or_b64 s[18:19], s[18:19], exec
	s_and_saveexec_b64 s[2:3], s[24:25]
	s_cbranch_execz .LBB68_32
; %bb.31:
	v_mul_f32_e32 v15, v7, v7
	v_fmac_f32_e32 v15, v6, v6
	v_div_scale_f32 v16, s[24:25], v15, v15, 1.0
	v_div_scale_f32 v17, vcc, 1.0, v15, 1.0
	s_andn2_b64 s[18:19], s[18:19], exec
	s_and_b64 s[20:21], s[20:21], exec
	s_or_b64 s[18:19], s[18:19], s[20:21]
	v_rcp_f32_e32 v18, v16
	v_fma_f32 v19, -v16, v18, 1.0
	v_fmac_f32_e32 v18, v19, v18
	v_mul_f32_e32 v19, v17, v18
	v_fma_f32 v20, -v16, v19, v17
	v_fmac_f32_e32 v19, v20, v18
	v_fma_f32 v16, -v16, v19, v17
	v_div_fmas_f32 v16, v16, v18, v19
	s_waitcnt vmcnt(0)
	v_mul_f32_e32 v17, v7, v5
	v_mul_f32_e64 v7, v7, -v4
	v_fmac_f32_e32 v17, v4, v6
	v_fmac_f32_e32 v7, v5, v6
	v_div_fixup_f32 v5, v16, v15, 1.0
	v_mul_f32_e32 v4, v5, v17
	v_mul_f32_e32 v5, v5, v7
	global_store_dwordx2 v[8:9], v[4:5], off offset:-8
.LBB68_32:
	s_or_b64 exec, exec, s[2:3]
	v_cmp_gt_i32_e32 vcc, s23, v0
	s_and_saveexec_b64 s[2:3], vcc
	s_cbranch_execz .LBB68_37
; %bb.33:
	v_add_u32_e32 v6, s23, v11
	v_mul_lo_u32 v8, v6, s33
	s_mov_b64 s[20:21], 0
	v_mov_b32_e32 v9, v13
	v_mov_b32_e32 v15, v0
	s_branch .LBB68_35
.LBB68_34:                              ;   in Loop: Header=BB68_35 Depth=1
	v_ashrrev_i32_e32 v7, 31, v6
	v_lshlrev_b64 v[6:7], 3, v[6:7]
	v_mov_b32_e32 v16, s7
	v_add_co_u32_e32 v6, vcc, s6, v6
	v_addc_co_u32_e32 v7, vcc, v16, v7, vcc
	v_add_u32_e32 v16, v10, v15
	v_ashrrev_i32_e32 v17, 31, v16
	v_lshlrev_b64 v[16:17], 3, v[16:17]
	global_load_dwordx2 v[6:7], v[6:7], off
	v_mov_b32_e32 v18, s9
	v_add_co_u32_e32 v16, vcc, s8, v16
	v_addc_co_u32_e32 v17, vcc, v18, v17, vcc
	global_load_dwordx2 v[18:19], v[16:17], off
	v_add_u32_e32 v15, 32, v15
	v_cmp_le_i32_e32 vcc, s23, v15
	s_or_b64 s[20:21], vcc, s[20:21]
	v_add_u32_e32 v9, s17, v9
	s_waitcnt vmcnt(1)
	v_mul_f32_e64 v20, v7, -v5
	v_mul_f32_e32 v7, v4, v7
	v_fmac_f32_e32 v20, v4, v6
	v_fmac_f32_e32 v7, v5, v6
	s_waitcnt vmcnt(0)
	v_sub_f32_e32 v6, v18, v20
	v_sub_f32_e32 v7, v19, v7
	global_store_dwordx2 v[16:17], v[6:7], off
	s_andn2_b64 exec, exec, s[20:21]
	s_cbranch_execz .LBB68_37
.LBB68_35:                              ; =>This Inner Loop Header: Depth=1
	s_andn2_b64 vcc, exec, s[12:13]
	v_mov_b32_e32 v6, v9
	s_cbranch_vccnz .LBB68_34
; %bb.36:                               ;   in Loop: Header=BB68_35 Depth=1
	v_add_u32_e32 v6, v15, v8
	s_branch .LBB68_34
.LBB68_37:
	s_or_b64 exec, exec, s[2:3]
; %bb.38:
	s_cmp_lt_i32 s22, 2
	v_add_u32_e32 v13, -1, v13
	s_cbranch_scc1 .LBB68_40
; %bb.39:
	s_mov_b64 s[20:21], s[18:19]
	s_mov_b32 s22, s23
	s_and_b64 vcc, exec, s[0:1]
	s_add_i32 s23, s22, -1
	s_cbranch_vccnz .LBB68_28
	s_branch .LBB68_29
.LBB68_40:
	s_and_b64 s[0:1], s[18:19], exec
.LBB68_41:
	s_or_b64 exec, exec, s[4:5]
	v_cmp_eq_u32_e32 vcc, 0, v0
	s_and_b64 exec, exec, vcc
	s_cbranch_execz .LBB68_47
; %bb.42:
	v_mov_b32_e32 v0, s11
	v_add_co_u32_e32 v2, vcc, s10, v2
	v_addc_co_u32_e32 v3, vcc, v0, v3, vcc
	v_mov_b32_e32 v0, 1
	s_waitcnt vmcnt(0)
	global_store_dword v[2:3], v0, off
	s_and_b64 exec, exec, s[0:1]
	s_cbranch_execz .LBB68_47
; %bb.43:
	s_mov_b64 s[0:1], exec
	v_add_u32_e32 v0, s16, v1
	s_brev_b32 s2, -2
.LBB68_44:                              ; =>This Inner Loop Header: Depth=1
	s_ff1_i32_b64 s3, s[0:1]
	v_readlane_b32 s6, v0, s3
	s_lshl_b64 s[4:5], 1, s3
	s_min_i32 s2, s2, s6
	s_andn2_b64 s[0:1], s[0:1], s[4:5]
	s_cmp_lg_u64 s[0:1], 0
	s_cbranch_scc1 .LBB68_44
; %bb.45:
	v_mbcnt_lo_u32_b32 v0, exec_lo, 0
	v_mbcnt_hi_u32_b32 v0, exec_hi, v0
	v_cmp_eq_u32_e32 vcc, 0, v0
	s_and_saveexec_b64 s[0:1], vcc
	s_xor_b64 s[0:1], exec, s[0:1]
	s_cbranch_execz .LBB68_47
; %bb.46:
	v_mov_b32_e32 v0, 0
	v_mov_b32_e32 v1, s2
	global_atomic_smin v0, v1, s[14:15]
.LBB68_47:
	s_endpgm
	.section	.rodata,"a",@progbits
	.p2align	6, 0x0
	.amdhsa_kernel _ZN9rocsparseL19bsrsv_upper_generalILj128ELj32ELb0E21rocsparse_complex_numIfEEEviNS_24const_host_device_scalarIT2_EEPKiS7_PKS4_iS9_PS4_PiSB_SB_21rocsparse_index_base_20rocsparse_diag_type_20rocsparse_direction_b
		.amdhsa_group_segment_fixed_size 0
		.amdhsa_private_segment_fixed_size 0
		.amdhsa_kernarg_size 104
		.amdhsa_user_sgpr_count 6
		.amdhsa_user_sgpr_private_segment_buffer 1
		.amdhsa_user_sgpr_dispatch_ptr 0
		.amdhsa_user_sgpr_queue_ptr 0
		.amdhsa_user_sgpr_kernarg_segment_ptr 1
		.amdhsa_user_sgpr_dispatch_id 0
		.amdhsa_user_sgpr_flat_scratch_init 0
		.amdhsa_user_sgpr_private_segment_size 0
		.amdhsa_uses_dynamic_stack 0
		.amdhsa_system_sgpr_private_segment_wavefront_offset 0
		.amdhsa_system_sgpr_workgroup_id_x 1
		.amdhsa_system_sgpr_workgroup_id_y 0
		.amdhsa_system_sgpr_workgroup_id_z 0
		.amdhsa_system_sgpr_workgroup_info 0
		.amdhsa_system_vgpr_workitem_id 0
		.amdhsa_next_free_vgpr 21
		.amdhsa_next_free_sgpr 35
		.amdhsa_reserve_vcc 1
		.amdhsa_reserve_flat_scratch 0
		.amdhsa_float_round_mode_32 0
		.amdhsa_float_round_mode_16_64 0
		.amdhsa_float_denorm_mode_32 3
		.amdhsa_float_denorm_mode_16_64 3
		.amdhsa_dx10_clamp 1
		.amdhsa_ieee_mode 1
		.amdhsa_fp16_overflow 0
		.amdhsa_exception_fp_ieee_invalid_op 0
		.amdhsa_exception_fp_denorm_src 0
		.amdhsa_exception_fp_ieee_div_zero 0
		.amdhsa_exception_fp_ieee_overflow 0
		.amdhsa_exception_fp_ieee_underflow 0
		.amdhsa_exception_fp_ieee_inexact 0
		.amdhsa_exception_int_div_zero 0
	.end_amdhsa_kernel
	.section	.text._ZN9rocsparseL19bsrsv_upper_generalILj128ELj32ELb0E21rocsparse_complex_numIfEEEviNS_24const_host_device_scalarIT2_EEPKiS7_PKS4_iS9_PS4_PiSB_SB_21rocsparse_index_base_20rocsparse_diag_type_20rocsparse_direction_b,"axG",@progbits,_ZN9rocsparseL19bsrsv_upper_generalILj128ELj32ELb0E21rocsparse_complex_numIfEEEviNS_24const_host_device_scalarIT2_EEPKiS7_PKS4_iS9_PS4_PiSB_SB_21rocsparse_index_base_20rocsparse_diag_type_20rocsparse_direction_b,comdat
.Lfunc_end68:
	.size	_ZN9rocsparseL19bsrsv_upper_generalILj128ELj32ELb0E21rocsparse_complex_numIfEEEviNS_24const_host_device_scalarIT2_EEPKiS7_PKS4_iS9_PS4_PiSB_SB_21rocsparse_index_base_20rocsparse_diag_type_20rocsparse_direction_b, .Lfunc_end68-_ZN9rocsparseL19bsrsv_upper_generalILj128ELj32ELb0E21rocsparse_complex_numIfEEEviNS_24const_host_device_scalarIT2_EEPKiS7_PKS4_iS9_PS4_PiSB_SB_21rocsparse_index_base_20rocsparse_diag_type_20rocsparse_direction_b
                                        ; -- End function
	.set _ZN9rocsparseL19bsrsv_upper_generalILj128ELj32ELb0E21rocsparse_complex_numIfEEEviNS_24const_host_device_scalarIT2_EEPKiS7_PKS4_iS9_PS4_PiSB_SB_21rocsparse_index_base_20rocsparse_diag_type_20rocsparse_direction_b.num_vgpr, 21
	.set _ZN9rocsparseL19bsrsv_upper_generalILj128ELj32ELb0E21rocsparse_complex_numIfEEEviNS_24const_host_device_scalarIT2_EEPKiS7_PKS4_iS9_PS4_PiSB_SB_21rocsparse_index_base_20rocsparse_diag_type_20rocsparse_direction_b.num_agpr, 0
	.set _ZN9rocsparseL19bsrsv_upper_generalILj128ELj32ELb0E21rocsparse_complex_numIfEEEviNS_24const_host_device_scalarIT2_EEPKiS7_PKS4_iS9_PS4_PiSB_SB_21rocsparse_index_base_20rocsparse_diag_type_20rocsparse_direction_b.numbered_sgpr, 35
	.set _ZN9rocsparseL19bsrsv_upper_generalILj128ELj32ELb0E21rocsparse_complex_numIfEEEviNS_24const_host_device_scalarIT2_EEPKiS7_PKS4_iS9_PS4_PiSB_SB_21rocsparse_index_base_20rocsparse_diag_type_20rocsparse_direction_b.num_named_barrier, 0
	.set _ZN9rocsparseL19bsrsv_upper_generalILj128ELj32ELb0E21rocsparse_complex_numIfEEEviNS_24const_host_device_scalarIT2_EEPKiS7_PKS4_iS9_PS4_PiSB_SB_21rocsparse_index_base_20rocsparse_diag_type_20rocsparse_direction_b.private_seg_size, 0
	.set _ZN9rocsparseL19bsrsv_upper_generalILj128ELj32ELb0E21rocsparse_complex_numIfEEEviNS_24const_host_device_scalarIT2_EEPKiS7_PKS4_iS9_PS4_PiSB_SB_21rocsparse_index_base_20rocsparse_diag_type_20rocsparse_direction_b.uses_vcc, 1
	.set _ZN9rocsparseL19bsrsv_upper_generalILj128ELj32ELb0E21rocsparse_complex_numIfEEEviNS_24const_host_device_scalarIT2_EEPKiS7_PKS4_iS9_PS4_PiSB_SB_21rocsparse_index_base_20rocsparse_diag_type_20rocsparse_direction_b.uses_flat_scratch, 0
	.set _ZN9rocsparseL19bsrsv_upper_generalILj128ELj32ELb0E21rocsparse_complex_numIfEEEviNS_24const_host_device_scalarIT2_EEPKiS7_PKS4_iS9_PS4_PiSB_SB_21rocsparse_index_base_20rocsparse_diag_type_20rocsparse_direction_b.has_dyn_sized_stack, 0
	.set _ZN9rocsparseL19bsrsv_upper_generalILj128ELj32ELb0E21rocsparse_complex_numIfEEEviNS_24const_host_device_scalarIT2_EEPKiS7_PKS4_iS9_PS4_PiSB_SB_21rocsparse_index_base_20rocsparse_diag_type_20rocsparse_direction_b.has_recursion, 0
	.set _ZN9rocsparseL19bsrsv_upper_generalILj128ELj32ELb0E21rocsparse_complex_numIfEEEviNS_24const_host_device_scalarIT2_EEPKiS7_PKS4_iS9_PS4_PiSB_SB_21rocsparse_index_base_20rocsparse_diag_type_20rocsparse_direction_b.has_indirect_call, 0
	.section	.AMDGPU.csdata,"",@progbits
; Kernel info:
; codeLenInByte = 1728
; TotalNumSgprs: 39
; NumVgprs: 21
; ScratchSize: 0
; MemoryBound: 0
; FloatMode: 240
; IeeeMode: 1
; LDSByteSize: 0 bytes/workgroup (compile time only)
; SGPRBlocks: 4
; VGPRBlocks: 5
; NumSGPRsForWavesPerEU: 39
; NumVGPRsForWavesPerEU: 21
; Occupancy: 10
; WaveLimiterHint : 1
; COMPUTE_PGM_RSRC2:SCRATCH_EN: 0
; COMPUTE_PGM_RSRC2:USER_SGPR: 6
; COMPUTE_PGM_RSRC2:TRAP_HANDLER: 0
; COMPUTE_PGM_RSRC2:TGID_X_EN: 1
; COMPUTE_PGM_RSRC2:TGID_Y_EN: 0
; COMPUTE_PGM_RSRC2:TGID_Z_EN: 0
; COMPUTE_PGM_RSRC2:TIDIG_COMP_CNT: 0
	.section	.text._ZN9rocsparseL10bsr_gatherILj4ELj64ELj2Ei21rocsparse_complex_numIdEEEv20rocsparse_direction_T2_PKS4_PKT3_PS7_S4_,"axG",@progbits,_ZN9rocsparseL10bsr_gatherILj4ELj64ELj2Ei21rocsparse_complex_numIdEEEv20rocsparse_direction_T2_PKS4_PKT3_PS7_S4_,comdat
	.globl	_ZN9rocsparseL10bsr_gatherILj4ELj64ELj2Ei21rocsparse_complex_numIdEEEv20rocsparse_direction_T2_PKS4_PKT3_PS7_S4_ ; -- Begin function _ZN9rocsparseL10bsr_gatherILj4ELj64ELj2Ei21rocsparse_complex_numIdEEEv20rocsparse_direction_T2_PKS4_PKT3_PS7_S4_
	.p2align	8
	.type	_ZN9rocsparseL10bsr_gatherILj4ELj64ELj2Ei21rocsparse_complex_numIdEEEv20rocsparse_direction_T2_PKS4_PKT3_PS7_S4_,@function
_ZN9rocsparseL10bsr_gatherILj4ELj64ELj2Ei21rocsparse_complex_numIdEEEv20rocsparse_direction_T2_PKS4_PKT3_PS7_S4_: ; @_ZN9rocsparseL10bsr_gatherILj4ELj64ELj2Ei21rocsparse_complex_numIdEEEv20rocsparse_direction_T2_PKS4_PKT3_PS7_S4_
; %bb.0:
	s_load_dwordx2 s[8:9], s[4:5], 0x0
	v_lshl_add_u32 v2, s6, 6, v1
	s_waitcnt lgkmcnt(0)
	v_cmp_gt_i32_e32 vcc, s9, v2
	s_and_saveexec_b64 s[0:1], vcc
	s_cbranch_execz .LBB69_15
; %bb.1:
	s_load_dword s16, s[4:5], 0x20
	v_and_b32_e32 v1, 1, v0
	s_waitcnt lgkmcnt(0)
	v_cmp_gt_i32_e32 vcc, s16, v1
	s_and_b64 exec, exec, vcc
	s_cbranch_execz .LBB69_15
; %bb.2:
	s_load_dwordx4 s[0:3], s[4:5], 0x8
	s_load_dwordx2 s[6:7], s[4:5], 0x18
	v_ashrrev_i32_e32 v3, 31, v2
	v_lshlrev_b64 v[3:4], 2, v[2:3]
	v_mul_lo_u32 v6, s16, v2
	s_waitcnt lgkmcnt(0)
	v_mov_b32_e32 v5, s1
	v_add_co_u32_e32 v3, vcc, s0, v3
	v_addc_co_u32_e32 v4, vcc, v5, v4, vcc
	global_load_dword v3, v[3:4], off
	v_add_u32_e32 v2, v6, v1
	v_mul_lo_u32 v8, s16, v2
	v_lshrrev_b32_e32 v0, 1, v0
	s_cmp_lg_u32 s8, 0
	v_cmp_gt_u32_e64 s[0:1], s16, v0
	s_cselect_b64 s[4:5], -1, 0
	s_lshl_b32 s17, s16, 1
	s_mov_b64 s[8:9], 0
	s_waitcnt vmcnt(0)
	v_mul_lo_u32 v7, v3, s16
	v_add_u32_e32 v2, v7, v1
	v_mul_lo_u32 v9, s16, v2
	s_branch .LBB69_4
.LBB69_3:                               ;   in Loop: Header=BB69_4 Depth=1
	s_or_b64 exec, exec, s[10:11]
	v_add_u32_e32 v1, 2, v1
	v_cmp_le_i32_e32 vcc, s16, v1
	v_add_u32_e32 v8, s17, v8
	s_or_b64 s[8:9], vcc, s[8:9]
	v_add_u32_e32 v9, s17, v9
	s_andn2_b64 exec, exec, s[8:9]
	s_cbranch_execz .LBB69_15
.LBB69_4:                               ; =>This Loop Header: Depth=1
                                        ;     Child Loop BB69_7 Depth 2
	s_and_saveexec_b64 s[10:11], s[0:1]
	s_cbranch_execz .LBB69_3
; %bb.5:                                ;   in Loop: Header=BB69_4 Depth=1
	s_mov_b64 s[12:13], 0
	v_mov_b32_e32 v10, v0
	s_branch .LBB69_7
.LBB69_6:                               ;   in Loop: Header=BB69_7 Depth=2
	v_ashrrev_i32_e32 v3, 31, v2
	v_lshlrev_b64 v[2:3], 4, v[2:3]
	v_mov_b32_e32 v5, s3
	v_add_co_u32_e32 v2, vcc, s2, v2
	v_addc_co_u32_e32 v3, vcc, v5, v3, vcc
	global_load_dwordx4 v[11:14], v[2:3], off
	v_ashrrev_i32_e32 v5, 31, v4
	v_lshlrev_b64 v[2:3], 4, v[4:5]
	v_mov_b32_e32 v4, s7
	v_add_co_u32_e32 v2, vcc, s6, v2
	v_addc_co_u32_e32 v3, vcc, v4, v3, vcc
	v_add_u32_e32 v10, 2, v10
	v_cmp_le_i32_e32 vcc, s16, v10
	s_or_b64 s[12:13], vcc, s[12:13]
	s_waitcnt vmcnt(0)
	global_store_dwordx4 v[2:3], v[11:14], off
	s_andn2_b64 exec, exec, s[12:13]
	s_cbranch_execz .LBB69_3
.LBB69_7:                               ;   Parent Loop BB69_4 Depth=1
                                        ; =>  This Inner Loop Header: Depth=2
	s_and_b64 vcc, exec, s[4:5]
	s_cbranch_vccz .LBB69_12
; %bb.8:                                ;   in Loop: Header=BB69_7 Depth=2
	v_add_u32_e32 v2, v9, v10
	s_cbranch_execnz .LBB69_10
.LBB69_9:                               ;   in Loop: Header=BB69_7 Depth=2
	v_add_u32_e32 v2, v10, v7
	v_mad_u64_u32 v[2:3], s[14:15], v2, s16, v[1:2]
.LBB69_10:                              ;   in Loop: Header=BB69_7 Depth=2
	s_and_b64 vcc, exec, s[4:5]
	s_cbranch_vccz .LBB69_13
; %bb.11:                               ;   in Loop: Header=BB69_7 Depth=2
	v_add_u32_e32 v3, v10, v6
	v_mad_u64_u32 v[4:5], s[14:15], v3, s16, v[1:2]
	s_cbranch_execnz .LBB69_6
	s_branch .LBB69_14
.LBB69_12:                              ;   in Loop: Header=BB69_7 Depth=2
                                        ; implicit-def: $vgpr2
	s_branch .LBB69_9
.LBB69_13:                              ;   in Loop: Header=BB69_7 Depth=2
                                        ; implicit-def: $vgpr4
.LBB69_14:                              ;   in Loop: Header=BB69_7 Depth=2
	v_add_u32_e32 v4, v8, v10
	s_branch .LBB69_6
.LBB69_15:
	s_endpgm
	.section	.rodata,"a",@progbits
	.p2align	6, 0x0
	.amdhsa_kernel _ZN9rocsparseL10bsr_gatherILj4ELj64ELj2Ei21rocsparse_complex_numIdEEEv20rocsparse_direction_T2_PKS4_PKT3_PS7_S4_
		.amdhsa_group_segment_fixed_size 0
		.amdhsa_private_segment_fixed_size 0
		.amdhsa_kernarg_size 36
		.amdhsa_user_sgpr_count 6
		.amdhsa_user_sgpr_private_segment_buffer 1
		.amdhsa_user_sgpr_dispatch_ptr 0
		.amdhsa_user_sgpr_queue_ptr 0
		.amdhsa_user_sgpr_kernarg_segment_ptr 1
		.amdhsa_user_sgpr_dispatch_id 0
		.amdhsa_user_sgpr_flat_scratch_init 0
		.amdhsa_user_sgpr_private_segment_size 0
		.amdhsa_uses_dynamic_stack 0
		.amdhsa_system_sgpr_private_segment_wavefront_offset 0
		.amdhsa_system_sgpr_workgroup_id_x 1
		.amdhsa_system_sgpr_workgroup_id_y 0
		.amdhsa_system_sgpr_workgroup_id_z 0
		.amdhsa_system_sgpr_workgroup_info 0
		.amdhsa_system_vgpr_workitem_id 1
		.amdhsa_next_free_vgpr 15
		.amdhsa_next_free_sgpr 18
		.amdhsa_reserve_vcc 1
		.amdhsa_reserve_flat_scratch 0
		.amdhsa_float_round_mode_32 0
		.amdhsa_float_round_mode_16_64 0
		.amdhsa_float_denorm_mode_32 3
		.amdhsa_float_denorm_mode_16_64 3
		.amdhsa_dx10_clamp 1
		.amdhsa_ieee_mode 1
		.amdhsa_fp16_overflow 0
		.amdhsa_exception_fp_ieee_invalid_op 0
		.amdhsa_exception_fp_denorm_src 0
		.amdhsa_exception_fp_ieee_div_zero 0
		.amdhsa_exception_fp_ieee_overflow 0
		.amdhsa_exception_fp_ieee_underflow 0
		.amdhsa_exception_fp_ieee_inexact 0
		.amdhsa_exception_int_div_zero 0
	.end_amdhsa_kernel
	.section	.text._ZN9rocsparseL10bsr_gatherILj4ELj64ELj2Ei21rocsparse_complex_numIdEEEv20rocsparse_direction_T2_PKS4_PKT3_PS7_S4_,"axG",@progbits,_ZN9rocsparseL10bsr_gatherILj4ELj64ELj2Ei21rocsparse_complex_numIdEEEv20rocsparse_direction_T2_PKS4_PKT3_PS7_S4_,comdat
.Lfunc_end69:
	.size	_ZN9rocsparseL10bsr_gatherILj4ELj64ELj2Ei21rocsparse_complex_numIdEEEv20rocsparse_direction_T2_PKS4_PKT3_PS7_S4_, .Lfunc_end69-_ZN9rocsparseL10bsr_gatherILj4ELj64ELj2Ei21rocsparse_complex_numIdEEEv20rocsparse_direction_T2_PKS4_PKT3_PS7_S4_
                                        ; -- End function
	.set _ZN9rocsparseL10bsr_gatherILj4ELj64ELj2Ei21rocsparse_complex_numIdEEEv20rocsparse_direction_T2_PKS4_PKT3_PS7_S4_.num_vgpr, 15
	.set _ZN9rocsparseL10bsr_gatherILj4ELj64ELj2Ei21rocsparse_complex_numIdEEEv20rocsparse_direction_T2_PKS4_PKT3_PS7_S4_.num_agpr, 0
	.set _ZN9rocsparseL10bsr_gatherILj4ELj64ELj2Ei21rocsparse_complex_numIdEEEv20rocsparse_direction_T2_PKS4_PKT3_PS7_S4_.numbered_sgpr, 18
	.set _ZN9rocsparseL10bsr_gatherILj4ELj64ELj2Ei21rocsparse_complex_numIdEEEv20rocsparse_direction_T2_PKS4_PKT3_PS7_S4_.num_named_barrier, 0
	.set _ZN9rocsparseL10bsr_gatherILj4ELj64ELj2Ei21rocsparse_complex_numIdEEEv20rocsparse_direction_T2_PKS4_PKT3_PS7_S4_.private_seg_size, 0
	.set _ZN9rocsparseL10bsr_gatherILj4ELj64ELj2Ei21rocsparse_complex_numIdEEEv20rocsparse_direction_T2_PKS4_PKT3_PS7_S4_.uses_vcc, 1
	.set _ZN9rocsparseL10bsr_gatherILj4ELj64ELj2Ei21rocsparse_complex_numIdEEEv20rocsparse_direction_T2_PKS4_PKT3_PS7_S4_.uses_flat_scratch, 0
	.set _ZN9rocsparseL10bsr_gatherILj4ELj64ELj2Ei21rocsparse_complex_numIdEEEv20rocsparse_direction_T2_PKS4_PKT3_PS7_S4_.has_dyn_sized_stack, 0
	.set _ZN9rocsparseL10bsr_gatherILj4ELj64ELj2Ei21rocsparse_complex_numIdEEEv20rocsparse_direction_T2_PKS4_PKT3_PS7_S4_.has_recursion, 0
	.set _ZN9rocsparseL10bsr_gatherILj4ELj64ELj2Ei21rocsparse_complex_numIdEEEv20rocsparse_direction_T2_PKS4_PKT3_PS7_S4_.has_indirect_call, 0
	.section	.AMDGPU.csdata,"",@progbits
; Kernel info:
; codeLenInByte = 400
; TotalNumSgprs: 22
; NumVgprs: 15
; ScratchSize: 0
; MemoryBound: 0
; FloatMode: 240
; IeeeMode: 1
; LDSByteSize: 0 bytes/workgroup (compile time only)
; SGPRBlocks: 2
; VGPRBlocks: 3
; NumSGPRsForWavesPerEU: 22
; NumVGPRsForWavesPerEU: 15
; Occupancy: 10
; WaveLimiterHint : 0
; COMPUTE_PGM_RSRC2:SCRATCH_EN: 0
; COMPUTE_PGM_RSRC2:USER_SGPR: 6
; COMPUTE_PGM_RSRC2:TRAP_HANDLER: 0
; COMPUTE_PGM_RSRC2:TGID_X_EN: 1
; COMPUTE_PGM_RSRC2:TGID_Y_EN: 0
; COMPUTE_PGM_RSRC2:TGID_Z_EN: 0
; COMPUTE_PGM_RSRC2:TIDIG_COMP_CNT: 1
	.section	.text._ZN9rocsparseL10bsr_gatherILj16ELj16ELj4Ei21rocsparse_complex_numIdEEEv20rocsparse_direction_T2_PKS4_PKT3_PS7_S4_,"axG",@progbits,_ZN9rocsparseL10bsr_gatherILj16ELj16ELj4Ei21rocsparse_complex_numIdEEEv20rocsparse_direction_T2_PKS4_PKT3_PS7_S4_,comdat
	.globl	_ZN9rocsparseL10bsr_gatherILj16ELj16ELj4Ei21rocsparse_complex_numIdEEEv20rocsparse_direction_T2_PKS4_PKT3_PS7_S4_ ; -- Begin function _ZN9rocsparseL10bsr_gatherILj16ELj16ELj4Ei21rocsparse_complex_numIdEEEv20rocsparse_direction_T2_PKS4_PKT3_PS7_S4_
	.p2align	8
	.type	_ZN9rocsparseL10bsr_gatherILj16ELj16ELj4Ei21rocsparse_complex_numIdEEEv20rocsparse_direction_T2_PKS4_PKT3_PS7_S4_,@function
_ZN9rocsparseL10bsr_gatherILj16ELj16ELj4Ei21rocsparse_complex_numIdEEEv20rocsparse_direction_T2_PKS4_PKT3_PS7_S4_: ; @_ZN9rocsparseL10bsr_gatherILj16ELj16ELj4Ei21rocsparse_complex_numIdEEEv20rocsparse_direction_T2_PKS4_PKT3_PS7_S4_
; %bb.0:
	s_load_dwordx2 s[8:9], s[4:5], 0x0
	v_lshl_add_u32 v2, s6, 4, v1
	s_waitcnt lgkmcnt(0)
	v_cmp_gt_i32_e32 vcc, s9, v2
	s_and_saveexec_b64 s[0:1], vcc
	s_cbranch_execz .LBB70_15
; %bb.1:
	s_load_dword s16, s[4:5], 0x20
	v_and_b32_e32 v1, 3, v0
	s_waitcnt lgkmcnt(0)
	v_cmp_gt_i32_e32 vcc, s16, v1
	s_and_b64 exec, exec, vcc
	s_cbranch_execz .LBB70_15
; %bb.2:
	s_load_dwordx4 s[0:3], s[4:5], 0x8
	s_load_dwordx2 s[6:7], s[4:5], 0x18
	v_ashrrev_i32_e32 v3, 31, v2
	v_lshlrev_b64 v[3:4], 2, v[2:3]
	v_mul_lo_u32 v6, s16, v2
	s_waitcnt lgkmcnt(0)
	v_mov_b32_e32 v5, s1
	v_add_co_u32_e32 v3, vcc, s0, v3
	v_addc_co_u32_e32 v4, vcc, v5, v4, vcc
	global_load_dword v3, v[3:4], off
	v_add_u32_e32 v2, v6, v1
	v_mul_lo_u32 v8, s16, v2
	v_lshrrev_b32_e32 v0, 2, v0
	s_cmp_lg_u32 s8, 0
	v_cmp_gt_u32_e64 s[0:1], s16, v0
	s_cselect_b64 s[4:5], -1, 0
	s_lshl_b32 s17, s16, 2
	s_mov_b64 s[8:9], 0
	s_waitcnt vmcnt(0)
	v_mul_lo_u32 v7, v3, s16
	v_add_u32_e32 v2, v7, v1
	v_mul_lo_u32 v9, s16, v2
	s_branch .LBB70_4
.LBB70_3:                               ;   in Loop: Header=BB70_4 Depth=1
	s_or_b64 exec, exec, s[10:11]
	v_add_u32_e32 v1, 4, v1
	v_cmp_le_i32_e32 vcc, s16, v1
	v_add_u32_e32 v8, s17, v8
	s_or_b64 s[8:9], vcc, s[8:9]
	v_add_u32_e32 v9, s17, v9
	s_andn2_b64 exec, exec, s[8:9]
	s_cbranch_execz .LBB70_15
.LBB70_4:                               ; =>This Loop Header: Depth=1
                                        ;     Child Loop BB70_7 Depth 2
	s_and_saveexec_b64 s[10:11], s[0:1]
	s_cbranch_execz .LBB70_3
; %bb.5:                                ;   in Loop: Header=BB70_4 Depth=1
	s_mov_b64 s[12:13], 0
	v_mov_b32_e32 v10, v0
	s_branch .LBB70_7
.LBB70_6:                               ;   in Loop: Header=BB70_7 Depth=2
	v_ashrrev_i32_e32 v3, 31, v2
	v_lshlrev_b64 v[2:3], 4, v[2:3]
	v_mov_b32_e32 v5, s3
	v_add_co_u32_e32 v2, vcc, s2, v2
	v_addc_co_u32_e32 v3, vcc, v5, v3, vcc
	global_load_dwordx4 v[11:14], v[2:3], off
	v_ashrrev_i32_e32 v5, 31, v4
	v_lshlrev_b64 v[2:3], 4, v[4:5]
	v_mov_b32_e32 v4, s7
	v_add_co_u32_e32 v2, vcc, s6, v2
	v_addc_co_u32_e32 v3, vcc, v4, v3, vcc
	v_add_u32_e32 v10, 4, v10
	v_cmp_le_i32_e32 vcc, s16, v10
	s_or_b64 s[12:13], vcc, s[12:13]
	s_waitcnt vmcnt(0)
	global_store_dwordx4 v[2:3], v[11:14], off
	s_andn2_b64 exec, exec, s[12:13]
	s_cbranch_execz .LBB70_3
.LBB70_7:                               ;   Parent Loop BB70_4 Depth=1
                                        ; =>  This Inner Loop Header: Depth=2
	s_and_b64 vcc, exec, s[4:5]
	s_cbranch_vccz .LBB70_12
; %bb.8:                                ;   in Loop: Header=BB70_7 Depth=2
	v_add_u32_e32 v2, v9, v10
	s_cbranch_execnz .LBB70_10
.LBB70_9:                               ;   in Loop: Header=BB70_7 Depth=2
	v_add_u32_e32 v2, v10, v7
	v_mad_u64_u32 v[2:3], s[14:15], v2, s16, v[1:2]
.LBB70_10:                              ;   in Loop: Header=BB70_7 Depth=2
	s_and_b64 vcc, exec, s[4:5]
	s_cbranch_vccz .LBB70_13
; %bb.11:                               ;   in Loop: Header=BB70_7 Depth=2
	v_add_u32_e32 v3, v10, v6
	v_mad_u64_u32 v[4:5], s[14:15], v3, s16, v[1:2]
	s_cbranch_execnz .LBB70_6
	s_branch .LBB70_14
.LBB70_12:                              ;   in Loop: Header=BB70_7 Depth=2
                                        ; implicit-def: $vgpr2
	s_branch .LBB70_9
.LBB70_13:                              ;   in Loop: Header=BB70_7 Depth=2
                                        ; implicit-def: $vgpr4
.LBB70_14:                              ;   in Loop: Header=BB70_7 Depth=2
	v_add_u32_e32 v4, v8, v10
	s_branch .LBB70_6
.LBB70_15:
	s_endpgm
	.section	.rodata,"a",@progbits
	.p2align	6, 0x0
	.amdhsa_kernel _ZN9rocsparseL10bsr_gatherILj16ELj16ELj4Ei21rocsparse_complex_numIdEEEv20rocsparse_direction_T2_PKS4_PKT3_PS7_S4_
		.amdhsa_group_segment_fixed_size 0
		.amdhsa_private_segment_fixed_size 0
		.amdhsa_kernarg_size 36
		.amdhsa_user_sgpr_count 6
		.amdhsa_user_sgpr_private_segment_buffer 1
		.amdhsa_user_sgpr_dispatch_ptr 0
		.amdhsa_user_sgpr_queue_ptr 0
		.amdhsa_user_sgpr_kernarg_segment_ptr 1
		.amdhsa_user_sgpr_dispatch_id 0
		.amdhsa_user_sgpr_flat_scratch_init 0
		.amdhsa_user_sgpr_private_segment_size 0
		.amdhsa_uses_dynamic_stack 0
		.amdhsa_system_sgpr_private_segment_wavefront_offset 0
		.amdhsa_system_sgpr_workgroup_id_x 1
		.amdhsa_system_sgpr_workgroup_id_y 0
		.amdhsa_system_sgpr_workgroup_id_z 0
		.amdhsa_system_sgpr_workgroup_info 0
		.amdhsa_system_vgpr_workitem_id 1
		.amdhsa_next_free_vgpr 15
		.amdhsa_next_free_sgpr 18
		.amdhsa_reserve_vcc 1
		.amdhsa_reserve_flat_scratch 0
		.amdhsa_float_round_mode_32 0
		.amdhsa_float_round_mode_16_64 0
		.amdhsa_float_denorm_mode_32 3
		.amdhsa_float_denorm_mode_16_64 3
		.amdhsa_dx10_clamp 1
		.amdhsa_ieee_mode 1
		.amdhsa_fp16_overflow 0
		.amdhsa_exception_fp_ieee_invalid_op 0
		.amdhsa_exception_fp_denorm_src 0
		.amdhsa_exception_fp_ieee_div_zero 0
		.amdhsa_exception_fp_ieee_overflow 0
		.amdhsa_exception_fp_ieee_underflow 0
		.amdhsa_exception_fp_ieee_inexact 0
		.amdhsa_exception_int_div_zero 0
	.end_amdhsa_kernel
	.section	.text._ZN9rocsparseL10bsr_gatherILj16ELj16ELj4Ei21rocsparse_complex_numIdEEEv20rocsparse_direction_T2_PKS4_PKT3_PS7_S4_,"axG",@progbits,_ZN9rocsparseL10bsr_gatherILj16ELj16ELj4Ei21rocsparse_complex_numIdEEEv20rocsparse_direction_T2_PKS4_PKT3_PS7_S4_,comdat
.Lfunc_end70:
	.size	_ZN9rocsparseL10bsr_gatherILj16ELj16ELj4Ei21rocsparse_complex_numIdEEEv20rocsparse_direction_T2_PKS4_PKT3_PS7_S4_, .Lfunc_end70-_ZN9rocsparseL10bsr_gatherILj16ELj16ELj4Ei21rocsparse_complex_numIdEEEv20rocsparse_direction_T2_PKS4_PKT3_PS7_S4_
                                        ; -- End function
	.set _ZN9rocsparseL10bsr_gatherILj16ELj16ELj4Ei21rocsparse_complex_numIdEEEv20rocsparse_direction_T2_PKS4_PKT3_PS7_S4_.num_vgpr, 15
	.set _ZN9rocsparseL10bsr_gatherILj16ELj16ELj4Ei21rocsparse_complex_numIdEEEv20rocsparse_direction_T2_PKS4_PKT3_PS7_S4_.num_agpr, 0
	.set _ZN9rocsparseL10bsr_gatherILj16ELj16ELj4Ei21rocsparse_complex_numIdEEEv20rocsparse_direction_T2_PKS4_PKT3_PS7_S4_.numbered_sgpr, 18
	.set _ZN9rocsparseL10bsr_gatherILj16ELj16ELj4Ei21rocsparse_complex_numIdEEEv20rocsparse_direction_T2_PKS4_PKT3_PS7_S4_.num_named_barrier, 0
	.set _ZN9rocsparseL10bsr_gatherILj16ELj16ELj4Ei21rocsparse_complex_numIdEEEv20rocsparse_direction_T2_PKS4_PKT3_PS7_S4_.private_seg_size, 0
	.set _ZN9rocsparseL10bsr_gatherILj16ELj16ELj4Ei21rocsparse_complex_numIdEEEv20rocsparse_direction_T2_PKS4_PKT3_PS7_S4_.uses_vcc, 1
	.set _ZN9rocsparseL10bsr_gatherILj16ELj16ELj4Ei21rocsparse_complex_numIdEEEv20rocsparse_direction_T2_PKS4_PKT3_PS7_S4_.uses_flat_scratch, 0
	.set _ZN9rocsparseL10bsr_gatherILj16ELj16ELj4Ei21rocsparse_complex_numIdEEEv20rocsparse_direction_T2_PKS4_PKT3_PS7_S4_.has_dyn_sized_stack, 0
	.set _ZN9rocsparseL10bsr_gatherILj16ELj16ELj4Ei21rocsparse_complex_numIdEEEv20rocsparse_direction_T2_PKS4_PKT3_PS7_S4_.has_recursion, 0
	.set _ZN9rocsparseL10bsr_gatherILj16ELj16ELj4Ei21rocsparse_complex_numIdEEEv20rocsparse_direction_T2_PKS4_PKT3_PS7_S4_.has_indirect_call, 0
	.section	.AMDGPU.csdata,"",@progbits
; Kernel info:
; codeLenInByte = 400
; TotalNumSgprs: 22
; NumVgprs: 15
; ScratchSize: 0
; MemoryBound: 0
; FloatMode: 240
; IeeeMode: 1
; LDSByteSize: 0 bytes/workgroup (compile time only)
; SGPRBlocks: 2
; VGPRBlocks: 3
; NumSGPRsForWavesPerEU: 22
; NumVGPRsForWavesPerEU: 15
; Occupancy: 10
; WaveLimiterHint : 0
; COMPUTE_PGM_RSRC2:SCRATCH_EN: 0
; COMPUTE_PGM_RSRC2:USER_SGPR: 6
; COMPUTE_PGM_RSRC2:TRAP_HANDLER: 0
; COMPUTE_PGM_RSRC2:TGID_X_EN: 1
; COMPUTE_PGM_RSRC2:TGID_Y_EN: 0
; COMPUTE_PGM_RSRC2:TGID_Z_EN: 0
; COMPUTE_PGM_RSRC2:TIDIG_COMP_CNT: 1
	.section	.text._ZN9rocsparseL10bsr_gatherILj64ELj4ELj8Ei21rocsparse_complex_numIdEEEv20rocsparse_direction_T2_PKS4_PKT3_PS7_S4_,"axG",@progbits,_ZN9rocsparseL10bsr_gatherILj64ELj4ELj8Ei21rocsparse_complex_numIdEEEv20rocsparse_direction_T2_PKS4_PKT3_PS7_S4_,comdat
	.globl	_ZN9rocsparseL10bsr_gatherILj64ELj4ELj8Ei21rocsparse_complex_numIdEEEv20rocsparse_direction_T2_PKS4_PKT3_PS7_S4_ ; -- Begin function _ZN9rocsparseL10bsr_gatherILj64ELj4ELj8Ei21rocsparse_complex_numIdEEEv20rocsparse_direction_T2_PKS4_PKT3_PS7_S4_
	.p2align	8
	.type	_ZN9rocsparseL10bsr_gatherILj64ELj4ELj8Ei21rocsparse_complex_numIdEEEv20rocsparse_direction_T2_PKS4_PKT3_PS7_S4_,@function
_ZN9rocsparseL10bsr_gatherILj64ELj4ELj8Ei21rocsparse_complex_numIdEEEv20rocsparse_direction_T2_PKS4_PKT3_PS7_S4_: ; @_ZN9rocsparseL10bsr_gatherILj64ELj4ELj8Ei21rocsparse_complex_numIdEEEv20rocsparse_direction_T2_PKS4_PKT3_PS7_S4_
; %bb.0:
	s_load_dwordx2 s[8:9], s[4:5], 0x0
	v_lshl_add_u32 v2, s6, 2, v1
	s_waitcnt lgkmcnt(0)
	v_cmp_gt_i32_e32 vcc, s9, v2
	s_and_saveexec_b64 s[0:1], vcc
	s_cbranch_execz .LBB71_15
; %bb.1:
	s_load_dword s16, s[4:5], 0x20
	v_and_b32_e32 v1, 7, v0
	s_waitcnt lgkmcnt(0)
	v_cmp_gt_i32_e32 vcc, s16, v1
	s_and_b64 exec, exec, vcc
	s_cbranch_execz .LBB71_15
; %bb.2:
	s_load_dwordx4 s[0:3], s[4:5], 0x8
	s_load_dwordx2 s[6:7], s[4:5], 0x18
	v_ashrrev_i32_e32 v3, 31, v2
	v_lshlrev_b64 v[3:4], 2, v[2:3]
	v_mul_lo_u32 v6, s16, v2
	s_waitcnt lgkmcnt(0)
	v_mov_b32_e32 v5, s1
	v_add_co_u32_e32 v3, vcc, s0, v3
	v_addc_co_u32_e32 v4, vcc, v5, v4, vcc
	global_load_dword v3, v[3:4], off
	v_add_u32_e32 v2, v6, v1
	v_mul_lo_u32 v8, s16, v2
	v_lshrrev_b32_e32 v0, 3, v0
	s_cmp_lg_u32 s8, 0
	v_cmp_gt_u32_e64 s[0:1], s16, v0
	s_cselect_b64 s[4:5], -1, 0
	s_lshl_b32 s17, s16, 3
	s_mov_b64 s[8:9], 0
	s_waitcnt vmcnt(0)
	v_mul_lo_u32 v7, v3, s16
	v_add_u32_e32 v2, v7, v1
	v_mul_lo_u32 v9, s16, v2
	s_branch .LBB71_4
.LBB71_3:                               ;   in Loop: Header=BB71_4 Depth=1
	s_or_b64 exec, exec, s[10:11]
	v_add_u32_e32 v1, 8, v1
	v_cmp_le_i32_e32 vcc, s16, v1
	v_add_u32_e32 v8, s17, v8
	s_or_b64 s[8:9], vcc, s[8:9]
	v_add_u32_e32 v9, s17, v9
	s_andn2_b64 exec, exec, s[8:9]
	s_cbranch_execz .LBB71_15
.LBB71_4:                               ; =>This Loop Header: Depth=1
                                        ;     Child Loop BB71_7 Depth 2
	s_and_saveexec_b64 s[10:11], s[0:1]
	s_cbranch_execz .LBB71_3
; %bb.5:                                ;   in Loop: Header=BB71_4 Depth=1
	s_mov_b64 s[12:13], 0
	v_mov_b32_e32 v10, v0
	s_branch .LBB71_7
.LBB71_6:                               ;   in Loop: Header=BB71_7 Depth=2
	v_ashrrev_i32_e32 v3, 31, v2
	v_lshlrev_b64 v[2:3], 4, v[2:3]
	v_mov_b32_e32 v5, s3
	v_add_co_u32_e32 v2, vcc, s2, v2
	v_addc_co_u32_e32 v3, vcc, v5, v3, vcc
	global_load_dwordx4 v[11:14], v[2:3], off
	v_ashrrev_i32_e32 v5, 31, v4
	v_lshlrev_b64 v[2:3], 4, v[4:5]
	v_mov_b32_e32 v4, s7
	v_add_co_u32_e32 v2, vcc, s6, v2
	v_addc_co_u32_e32 v3, vcc, v4, v3, vcc
	v_add_u32_e32 v10, 8, v10
	v_cmp_le_i32_e32 vcc, s16, v10
	s_or_b64 s[12:13], vcc, s[12:13]
	s_waitcnt vmcnt(0)
	global_store_dwordx4 v[2:3], v[11:14], off
	s_andn2_b64 exec, exec, s[12:13]
	s_cbranch_execz .LBB71_3
.LBB71_7:                               ;   Parent Loop BB71_4 Depth=1
                                        ; =>  This Inner Loop Header: Depth=2
	s_and_b64 vcc, exec, s[4:5]
	s_cbranch_vccz .LBB71_12
; %bb.8:                                ;   in Loop: Header=BB71_7 Depth=2
	v_add_u32_e32 v2, v9, v10
	s_cbranch_execnz .LBB71_10
.LBB71_9:                               ;   in Loop: Header=BB71_7 Depth=2
	v_add_u32_e32 v2, v10, v7
	v_mad_u64_u32 v[2:3], s[14:15], v2, s16, v[1:2]
.LBB71_10:                              ;   in Loop: Header=BB71_7 Depth=2
	s_and_b64 vcc, exec, s[4:5]
	s_cbranch_vccz .LBB71_13
; %bb.11:                               ;   in Loop: Header=BB71_7 Depth=2
	v_add_u32_e32 v3, v10, v6
	v_mad_u64_u32 v[4:5], s[14:15], v3, s16, v[1:2]
	s_cbranch_execnz .LBB71_6
	s_branch .LBB71_14
.LBB71_12:                              ;   in Loop: Header=BB71_7 Depth=2
                                        ; implicit-def: $vgpr2
	s_branch .LBB71_9
.LBB71_13:                              ;   in Loop: Header=BB71_7 Depth=2
                                        ; implicit-def: $vgpr4
.LBB71_14:                              ;   in Loop: Header=BB71_7 Depth=2
	v_add_u32_e32 v4, v8, v10
	s_branch .LBB71_6
.LBB71_15:
	s_endpgm
	.section	.rodata,"a",@progbits
	.p2align	6, 0x0
	.amdhsa_kernel _ZN9rocsparseL10bsr_gatherILj64ELj4ELj8Ei21rocsparse_complex_numIdEEEv20rocsparse_direction_T2_PKS4_PKT3_PS7_S4_
		.amdhsa_group_segment_fixed_size 0
		.amdhsa_private_segment_fixed_size 0
		.amdhsa_kernarg_size 36
		.amdhsa_user_sgpr_count 6
		.amdhsa_user_sgpr_private_segment_buffer 1
		.amdhsa_user_sgpr_dispatch_ptr 0
		.amdhsa_user_sgpr_queue_ptr 0
		.amdhsa_user_sgpr_kernarg_segment_ptr 1
		.amdhsa_user_sgpr_dispatch_id 0
		.amdhsa_user_sgpr_flat_scratch_init 0
		.amdhsa_user_sgpr_private_segment_size 0
		.amdhsa_uses_dynamic_stack 0
		.amdhsa_system_sgpr_private_segment_wavefront_offset 0
		.amdhsa_system_sgpr_workgroup_id_x 1
		.amdhsa_system_sgpr_workgroup_id_y 0
		.amdhsa_system_sgpr_workgroup_id_z 0
		.amdhsa_system_sgpr_workgroup_info 0
		.amdhsa_system_vgpr_workitem_id 1
		.amdhsa_next_free_vgpr 15
		.amdhsa_next_free_sgpr 18
		.amdhsa_reserve_vcc 1
		.amdhsa_reserve_flat_scratch 0
		.amdhsa_float_round_mode_32 0
		.amdhsa_float_round_mode_16_64 0
		.amdhsa_float_denorm_mode_32 3
		.amdhsa_float_denorm_mode_16_64 3
		.amdhsa_dx10_clamp 1
		.amdhsa_ieee_mode 1
		.amdhsa_fp16_overflow 0
		.amdhsa_exception_fp_ieee_invalid_op 0
		.amdhsa_exception_fp_denorm_src 0
		.amdhsa_exception_fp_ieee_div_zero 0
		.amdhsa_exception_fp_ieee_overflow 0
		.amdhsa_exception_fp_ieee_underflow 0
		.amdhsa_exception_fp_ieee_inexact 0
		.amdhsa_exception_int_div_zero 0
	.end_amdhsa_kernel
	.section	.text._ZN9rocsparseL10bsr_gatherILj64ELj4ELj8Ei21rocsparse_complex_numIdEEEv20rocsparse_direction_T2_PKS4_PKT3_PS7_S4_,"axG",@progbits,_ZN9rocsparseL10bsr_gatherILj64ELj4ELj8Ei21rocsparse_complex_numIdEEEv20rocsparse_direction_T2_PKS4_PKT3_PS7_S4_,comdat
.Lfunc_end71:
	.size	_ZN9rocsparseL10bsr_gatherILj64ELj4ELj8Ei21rocsparse_complex_numIdEEEv20rocsparse_direction_T2_PKS4_PKT3_PS7_S4_, .Lfunc_end71-_ZN9rocsparseL10bsr_gatherILj64ELj4ELj8Ei21rocsparse_complex_numIdEEEv20rocsparse_direction_T2_PKS4_PKT3_PS7_S4_
                                        ; -- End function
	.set _ZN9rocsparseL10bsr_gatherILj64ELj4ELj8Ei21rocsparse_complex_numIdEEEv20rocsparse_direction_T2_PKS4_PKT3_PS7_S4_.num_vgpr, 15
	.set _ZN9rocsparseL10bsr_gatherILj64ELj4ELj8Ei21rocsparse_complex_numIdEEEv20rocsparse_direction_T2_PKS4_PKT3_PS7_S4_.num_agpr, 0
	.set _ZN9rocsparseL10bsr_gatherILj64ELj4ELj8Ei21rocsparse_complex_numIdEEEv20rocsparse_direction_T2_PKS4_PKT3_PS7_S4_.numbered_sgpr, 18
	.set _ZN9rocsparseL10bsr_gatherILj64ELj4ELj8Ei21rocsparse_complex_numIdEEEv20rocsparse_direction_T2_PKS4_PKT3_PS7_S4_.num_named_barrier, 0
	.set _ZN9rocsparseL10bsr_gatherILj64ELj4ELj8Ei21rocsparse_complex_numIdEEEv20rocsparse_direction_T2_PKS4_PKT3_PS7_S4_.private_seg_size, 0
	.set _ZN9rocsparseL10bsr_gatherILj64ELj4ELj8Ei21rocsparse_complex_numIdEEEv20rocsparse_direction_T2_PKS4_PKT3_PS7_S4_.uses_vcc, 1
	.set _ZN9rocsparseL10bsr_gatherILj64ELj4ELj8Ei21rocsparse_complex_numIdEEEv20rocsparse_direction_T2_PKS4_PKT3_PS7_S4_.uses_flat_scratch, 0
	.set _ZN9rocsparseL10bsr_gatherILj64ELj4ELj8Ei21rocsparse_complex_numIdEEEv20rocsparse_direction_T2_PKS4_PKT3_PS7_S4_.has_dyn_sized_stack, 0
	.set _ZN9rocsparseL10bsr_gatherILj64ELj4ELj8Ei21rocsparse_complex_numIdEEEv20rocsparse_direction_T2_PKS4_PKT3_PS7_S4_.has_recursion, 0
	.set _ZN9rocsparseL10bsr_gatherILj64ELj4ELj8Ei21rocsparse_complex_numIdEEEv20rocsparse_direction_T2_PKS4_PKT3_PS7_S4_.has_indirect_call, 0
	.section	.AMDGPU.csdata,"",@progbits
; Kernel info:
; codeLenInByte = 400
; TotalNumSgprs: 22
; NumVgprs: 15
; ScratchSize: 0
; MemoryBound: 0
; FloatMode: 240
; IeeeMode: 1
; LDSByteSize: 0 bytes/workgroup (compile time only)
; SGPRBlocks: 2
; VGPRBlocks: 3
; NumSGPRsForWavesPerEU: 22
; NumVGPRsForWavesPerEU: 15
; Occupancy: 10
; WaveLimiterHint : 0
; COMPUTE_PGM_RSRC2:SCRATCH_EN: 0
; COMPUTE_PGM_RSRC2:USER_SGPR: 6
; COMPUTE_PGM_RSRC2:TRAP_HANDLER: 0
; COMPUTE_PGM_RSRC2:TGID_X_EN: 1
; COMPUTE_PGM_RSRC2:TGID_Y_EN: 0
; COMPUTE_PGM_RSRC2:TGID_Z_EN: 0
; COMPUTE_PGM_RSRC2:TIDIG_COMP_CNT: 1
	.section	.text._ZN9rocsparseL18bsrsv_lower_sharedILj128ELj64ELi8ELb1E21rocsparse_complex_numIdEEEviNS_24const_host_device_scalarIT3_EEPKiS7_PKS4_iS9_PS4_PiSB_SB_21rocsparse_index_base_20rocsparse_diag_type_20rocsparse_direction_b,"axG",@progbits,_ZN9rocsparseL18bsrsv_lower_sharedILj128ELj64ELi8ELb1E21rocsparse_complex_numIdEEEviNS_24const_host_device_scalarIT3_EEPKiS7_PKS4_iS9_PS4_PiSB_SB_21rocsparse_index_base_20rocsparse_diag_type_20rocsparse_direction_b,comdat
	.globl	_ZN9rocsparseL18bsrsv_lower_sharedILj128ELj64ELi8ELb1E21rocsparse_complex_numIdEEEviNS_24const_host_device_scalarIT3_EEPKiS7_PKS4_iS9_PS4_PiSB_SB_21rocsparse_index_base_20rocsparse_diag_type_20rocsparse_direction_b ; -- Begin function _ZN9rocsparseL18bsrsv_lower_sharedILj128ELj64ELi8ELb1E21rocsparse_complex_numIdEEEviNS_24const_host_device_scalarIT3_EEPKiS7_PKS4_iS9_PS4_PiSB_SB_21rocsparse_index_base_20rocsparse_diag_type_20rocsparse_direction_b
	.p2align	8
	.type	_ZN9rocsparseL18bsrsv_lower_sharedILj128ELj64ELi8ELb1E21rocsparse_complex_numIdEEEviNS_24const_host_device_scalarIT3_EEPKiS7_PKS4_iS9_PS4_PiSB_SB_21rocsparse_index_base_20rocsparse_diag_type_20rocsparse_direction_b,@function
_ZN9rocsparseL18bsrsv_lower_sharedILj128ELj64ELi8ELb1E21rocsparse_complex_numIdEEEviNS_24const_host_device_scalarIT3_EEPKiS7_PKS4_iS9_PS4_PiSB_SB_21rocsparse_index_base_20rocsparse_diag_type_20rocsparse_direction_b: ; @_ZN9rocsparseL18bsrsv_lower_sharedILj128ELj64ELi8ELb1E21rocsparse_complex_numIdEEEviNS_24const_host_device_scalarIT3_EEPKiS7_PKS4_iS9_PS4_PiSB_SB_21rocsparse_index_base_20rocsparse_diag_type_20rocsparse_direction_b
; %bb.0:
	s_add_u32 flat_scratch_lo, s6, s9
	s_load_dwordx4 s[12:15], s[4:5], 0x60
	s_load_dwordx4 s[16:19], s[4:5], 0x8
	s_addc_u32 flat_scratch_hi, s7, 0
	s_add_u32 s0, s0, s9
	s_addc_u32 s1, s1, 0
	s_waitcnt lgkmcnt(0)
	s_bitcmp1_b32 s15, 0
	s_cselect_b64 s[10:11], -1, 0
	s_mov_b64 s[6:7], src_private_base
	v_mov_b32_e32 v1, s17
	s_and_b64 vcc, s[10:11], exec
	buffer_store_dword v1, off, s[0:3], 0 offset:4
	v_mov_b32_e32 v1, s16
	s_cselect_b32 s6, s7, s17
	s_cselect_b32 s7, 0, s16
	buffer_store_dword v1, off, s[0:3], 0
	v_mov_b32_e32 v1, s7
	v_mov_b32_e32 v2, s6
	flat_load_dwordx2 v[1:2], v[1:2]
	v_mov_b32_e32 v7, s18
	v_mov_b32_e32 v8, s19
	s_cbranch_vccnz .LBB72_2
; %bb.1:
	v_mov_b32_e32 v3, s16
	v_mov_b32_e32 v4, s17
	flat_load_dwordx2 v[7:8], v[3:4] offset:8
.LBB72_2:
	s_load_dword s9, s[4:5], 0x0
	s_lshl_b32 s6, s8, 1
	v_lshrrev_b32_e32 v15, 6, v0
	s_and_b32 s6, s6, 0x3fffffe
	v_or_b32_e32 v3, s6, v15
	s_waitcnt lgkmcnt(0)
	v_cmp_gt_i32_e32 vcc, s9, v3
	s_and_saveexec_b64 s[6:7], vcc
	s_cbranch_execz .LBB72_31
; %bb.3:
	s_load_dwordx2 s[6:7], s[4:5], 0x50
	s_load_dwordx4 s[16:19], s[4:5], 0x40
	v_lshlrev_b32_e32 v3, 2, v3
	v_and_b32_e32 v12, 63, v0
	v_mov_b32_e32 v5, 0
	s_waitcnt lgkmcnt(0)
	global_load_dword v9, v3, s[6:7]
	s_load_dwordx2 s[6:7], s[4:5], 0x18
	s_load_dword s33, s[4:5], 0x30
	v_mov_b32_e32 v6, 0
	s_waitcnt lgkmcnt(0)
	v_mov_b32_e32 v4, s7
	v_cmp_gt_i32_e64 s[10:11], s33, v12
	s_waitcnt vmcnt(0)
	v_ashrrev_i32_e32 v10, 31, v9
	v_lshlrev_b64 v[10:11], 2, v[9:10]
	v_add_co_u32_e32 v3, vcc, s6, v10
	v_addc_co_u32_e32 v4, vcc, v4, v11, vcc
	global_load_dwordx2 v[13:14], v[3:4], off
	v_mov_b32_e32 v3, 0
	v_mov_b32_e32 v4, 0
	s_and_saveexec_b64 s[6:7], s[10:11]
	s_cbranch_execz .LBB72_5
; %bb.4:
	s_waitcnt vmcnt(0)
	v_mad_u64_u32 v[3:4], s[20:21], v9, s33, v[12:13]
	s_load_dwordx2 s[20:21], s[4:5], 0x38
	v_ashrrev_i32_e32 v4, 31, v3
	v_lshlrev_b64 v[3:4], 4, v[3:4]
	s_waitcnt lgkmcnt(0)
	v_mov_b32_e32 v5, s21
	v_add_co_u32_e32 v3, vcc, s20, v3
	v_addc_co_u32_e32 v4, vcc, v5, v4, vcc
	global_load_dwordx4 v[3:6], v[3:4], off
.LBB72_5:
	s_or_b64 exec, exec, s[6:7]
	s_waitcnt vmcnt(0)
	v_mul_f64 v[16:17], v[5:6], -v[7:8]
	v_mul_f64 v[5:6], v[1:2], v[5:6]
	s_load_dwordx2 s[24:25], s[4:5], 0x58
	v_cmp_lt_i32_e32 vcc, v13, v14
	v_fma_f64 v[1:2], v[1:2], v[3:4], v[16:17]
	v_fma_f64 v[3:4], v[7:8], v[3:4], v[5:6]
	v_and_b32_e32 v5, 64, v0
	v_lshlrev_b32_e32 v18, 4, v5
	v_mov_b32_e32 v16, s9
	s_and_saveexec_b64 s[26:27], vcc
	s_cbranch_execz .LBB72_28
; %bb.6:
	s_load_dwordx4 s[20:23], s[4:5], 0x20
	v_mov_b32_e32 v5, 0x800
	v_lshl_or_b32 v19, v15, 7, v5
	v_and_b32_e32 v0, 7, v0
	v_lshrrev_b32_e32 v15, 3, v12
	v_lshlrev_b32_e32 v6, 4, v12
	v_add_u32_e32 v21, v19, v6
	v_add_u32_e32 v22, v18, v6
	v_max_i32_e32 v6, v0, v15
	s_cmp_lg_u32 s14, 0
	v_lshl_add_u32 v5, v0, 4, v18
	v_cmp_gt_i32_e64 s[8:9], s33, v6
	v_lshlrev_b32_e32 v6, 7, v15
	v_subrev_u32_e32 v13, s12, v13
	v_subrev_u32_e32 v20, s12, v14
	s_cselect_b64 s[14:15], -1, 0
	v_cmp_gt_u32_e64 s[6:7], 8, v12
	s_mov_b64 s[28:29], 0
	s_waitcnt lgkmcnt(0)
	v_mov_b32_e32 v23, s21
	v_add_u32_e32 v24, v5, v6
	s_branch .LBB72_9
.LBB72_7:                               ;   in Loop: Header=BB72_9 Depth=1
	s_or_b64 exec, exec, s[4:5]
.LBB72_8:                               ;   in Loop: Header=BB72_9 Depth=1
	s_or_b64 exec, exec, s[30:31]
	v_add_u32_e32 v13, 1, v13
	v_cmp_ge_i32_e64 s[4:5], v13, v20
	s_xor_b64 s[30:31], vcc, -1
	s_or_b64 s[4:5], s[30:31], s[4:5]
	s_and_b64 s[4:5], exec, s[4:5]
	s_or_b64 s[28:29], s[4:5], s[28:29]
	s_andn2_b64 exec, exec, s[28:29]
	s_cbranch_execz .LBB72_27
.LBB72_9:                               ; =>This Loop Header: Depth=1
                                        ;     Child Loop BB72_18 Depth 2
                                        ;       Child Loop BB72_19 Depth 3
	v_ashrrev_i32_e32 v14, 31, v13
	v_lshlrev_b64 v[5:6], 2, v[13:14]
	v_mov_b32_e32 v7, 0
	v_add_co_u32_e32 v5, vcc, s20, v5
	v_addc_co_u32_e32 v6, vcc, v23, v6, vcc
	global_load_dword v14, v[5:6], off
	v_mov_b32_e32 v5, 0
	v_mov_b32_e32 v6, 0
	;; [unrolled: 1-line block ×3, first 2 shown]
	s_and_saveexec_b64 s[4:5], s[8:9]
	s_cbranch_execz .LBB72_14
; %bb.10:                               ;   in Loop: Header=BB72_9 Depth=1
	v_mul_lo_u32 v7, v13, s33
	s_and_b64 vcc, exec, s[14:15]
	s_cbranch_vccz .LBB72_26
; %bb.11:                               ;   in Loop: Header=BB72_9 Depth=1
	v_add_u32_e32 v5, v7, v15
	v_mad_u64_u32 v[5:6], s[30:31], v5, s33, v[0:1]
	s_cbranch_execnz .LBB72_13
.LBB72_12:                              ;   in Loop: Header=BB72_9 Depth=1
	v_add_u32_e32 v5, v7, v0
	v_mad_u64_u32 v[5:6], s[30:31], v5, s33, v[15:16]
.LBB72_13:                              ;   in Loop: Header=BB72_9 Depth=1
	v_ashrrev_i32_e32 v6, 31, v5
	v_lshlrev_b64 v[5:6], 4, v[5:6]
	v_mov_b32_e32 v7, s23
	v_add_co_u32_e32 v5, vcc, s22, v5
	v_addc_co_u32_e32 v6, vcc, v7, v6, vcc
	global_load_dwordx4 v[5:8], v[5:6], off
.LBB72_14:                              ;   in Loop: Header=BB72_9 Depth=1
	s_or_b64 exec, exec, s[4:5]
	s_waitcnt vmcnt(0)
	v_subrev_u32_e32 v16, s12, v14
	v_cmp_lt_i32_e32 vcc, v16, v9
	ds_write_b128 v24, v[5:8]
	s_and_saveexec_b64 s[30:31], vcc
	s_cbranch_execz .LBB72_8
; %bb.15:                               ;   in Loop: Header=BB72_9 Depth=1
	v_ashrrev_i32_e32 v17, 31, v16
	v_lshlrev_b64 v[5:6], 2, v[16:17]
	v_mov_b32_e32 v7, s19
	v_add_co_u32_e64 v5, s[4:5], s18, v5
	v_addc_co_u32_e64 v6, s[4:5], v7, v6, s[4:5]
	global_load_dword v7, v[5:6], off glc
	s_waitcnt vmcnt(0)
	v_cmp_eq_u32_e64 s[4:5], 0, v7
	s_and_saveexec_b64 s[34:35], s[4:5]
	s_cbranch_execz .LBB72_20
; %bb.16:                               ;   in Loop: Header=BB72_9 Depth=1
	s_mov_b32 s21, 0
	s_mov_b64 s[36:37], 0
	s_branch .LBB72_18
.LBB72_17:                              ;   in Loop: Header=BB72_18 Depth=2
	global_load_dword v7, v[5:6], off glc
	s_cmpk_lt_u32 s21, 0xf43
	s_cselect_b64 s[4:5], -1, 0
	s_cmp_lg_u64 s[4:5], 0
	s_addc_u32 s21, s21, 0
	s_waitcnt vmcnt(0)
	v_cmp_ne_u32_e64 s[4:5], 0, v7
	s_or_b64 s[36:37], s[4:5], s[36:37]
	s_andn2_b64 exec, exec, s[36:37]
	s_cbranch_execz .LBB72_20
.LBB72_18:                              ;   Parent Loop BB72_9 Depth=1
                                        ; =>  This Loop Header: Depth=2
                                        ;       Child Loop BB72_19 Depth 3
	s_cmp_eq_u32 s21, 0
	s_mov_b32 s4, s21
	s_cbranch_scc1 .LBB72_17
.LBB72_19:                              ;   Parent Loop BB72_9 Depth=1
                                        ;     Parent Loop BB72_18 Depth=2
                                        ; =>    This Inner Loop Header: Depth=3
	s_add_i32 s4, s4, -1
	s_cmp_eq_u32 s4, 0
	s_sleep 1
	s_cbranch_scc0 .LBB72_19
	s_branch .LBB72_17
.LBB72_20:                              ;   in Loop: Header=BB72_9 Depth=1
	s_or_b64 exec, exec, s[34:35]
	s_waitcnt lgkmcnt(0)
	buffer_wbinvl1_vol
	s_and_saveexec_b64 s[34:35], s[6:7]
	s_cbranch_execz .LBB72_24
; %bb.21:                               ;   in Loop: Header=BB72_9 Depth=1
	v_mov_b32_e32 v7, 0
	v_mov_b32_e32 v5, 0
	v_mov_b32_e32 v8, 0
	v_mov_b32_e32 v6, 0
	s_and_saveexec_b64 s[36:37], s[10:11]
	s_cbranch_execz .LBB72_23
; %bb.22:                               ;   in Loop: Header=BB72_9 Depth=1
	v_mad_u64_u32 v[5:6], s[4:5], v16, s33, v[12:13]
	v_mov_b32_e32 v7, s17
	v_ashrrev_i32_e32 v6, 31, v5
	v_lshlrev_b64 v[5:6], 4, v[5:6]
	v_add_co_u32_e64 v5, s[4:5], s16, v5
	v_addc_co_u32_e64 v6, s[4:5], v7, v6, s[4:5]
	global_load_dwordx4 v[5:8], v[5:6], off
.LBB72_23:                              ;   in Loop: Header=BB72_9 Depth=1
	s_or_b64 exec, exec, s[36:37]
	s_waitcnt vmcnt(0)
	ds_write_b128 v21, v[5:8]
.LBB72_24:                              ;   in Loop: Header=BB72_9 Depth=1
	s_or_b64 exec, exec, s[34:35]
	s_waitcnt lgkmcnt(0)
	s_and_saveexec_b64 s[4:5], s[10:11]
	s_cbranch_execz .LBB72_7
; %bb.25:                               ;   in Loop: Header=BB72_9 Depth=1
	ds_read_b128 v[5:8], v22
	ds_read_b128 v[25:28], v19
	ds_read_b128 v[29:32], v19 offset:16
	ds_read_b128 v[33:36], v22 offset:128
	s_waitcnt lgkmcnt(2)
	v_fma_f64 v[1:2], -v[5:6], v[25:26], v[1:2]
	v_fma_f64 v[3:4], -v[7:8], v[25:26], v[3:4]
	v_fma_f64 v[1:2], v[7:8], v[27:28], v[1:2]
	v_fma_f64 v[3:4], -v[5:6], v[27:28], v[3:4]
	s_waitcnt lgkmcnt(0)
	v_fma_f64 v[1:2], -v[33:34], v[29:30], v[1:2]
	v_fma_f64 v[3:4], -v[35:36], v[29:30], v[3:4]
	v_fma_f64 v[35:36], v[35:36], v[31:32], v[1:2]
	v_fma_f64 v[33:34], -v[33:34], v[31:32], v[3:4]
	ds_read_b128 v[1:4], v22 offset:256
	ds_read_b128 v[5:8], v19 offset:32
	ds_read_b128 v[25:28], v19 offset:48
	ds_read_b128 v[29:32], v22 offset:384
	s_waitcnt lgkmcnt(2)
	v_fma_f64 v[35:36], -v[1:2], v[5:6], v[35:36]
	v_fma_f64 v[5:6], -v[3:4], v[5:6], v[33:34]
	v_fma_f64 v[3:4], v[3:4], v[7:8], v[35:36]
	v_fma_f64 v[1:2], -v[1:2], v[7:8], v[5:6]
	s_waitcnt lgkmcnt(0)
	v_fma_f64 v[3:4], -v[29:30], v[25:26], v[3:4]
	v_fma_f64 v[1:2], -v[31:32], v[25:26], v[1:2]
	v_fma_f64 v[33:34], v[31:32], v[27:28], v[3:4]
	v_fma_f64 v[35:36], -v[29:30], v[27:28], v[1:2]
	ds_read_b128 v[1:4], v19 offset:64
	ds_read_b128 v[5:8], v22 offset:512
	;; [unrolled: 14-line block ×3, first 2 shown]
	ds_read_b128 v[25:28], v22 offset:896
	ds_read_b128 v[29:32], v19 offset:112
	s_waitcnt lgkmcnt(2)
	v_fma_f64 v[33:34], -v[5:6], v[1:2], v[33:34]
	v_fma_f64 v[1:2], -v[7:8], v[1:2], v[35:36]
	v_fma_f64 v[7:8], v[7:8], v[3:4], v[33:34]
	v_fma_f64 v[1:2], -v[5:6], v[3:4], v[1:2]
	s_waitcnt lgkmcnt(0)
	v_fma_f64 v[3:4], -v[25:26], v[29:30], v[7:8]
	v_fma_f64 v[5:6], -v[27:28], v[29:30], v[1:2]
	v_fma_f64 v[1:2], v[27:28], v[31:32], v[3:4]
	v_fma_f64 v[3:4], -v[25:26], v[31:32], v[5:6]
	s_branch .LBB72_7
.LBB72_26:                              ;   in Loop: Header=BB72_9 Depth=1
                                        ; implicit-def: $vgpr5
	s_branch .LBB72_12
.LBB72_27:
	s_or_b64 exec, exec, s[28:29]
.LBB72_28:
	s_or_b64 exec, exec, s[26:27]
	s_cmp_gt_i32 s33, 0
	v_cmp_eq_u32_e32 vcc, v16, v9
	s_cselect_b64 s[4:5], -1, 0
	s_mov_b32 s22, 0
	s_and_b64 s[6:7], s[4:5], vcc
	s_mov_b64 s[4:5], 0
	s_and_saveexec_b64 s[8:9], s[6:7]
	s_cbranch_execnz .LBB72_32
; %bb.29:
	s_or_b64 exec, exec, s[8:9]
	s_and_saveexec_b64 s[6:7], s[10:11]
	s_cbranch_execnz .LBB72_46
.LBB72_30:
	s_or_b64 exec, exec, s[6:7]
	v_cmp_eq_u32_e32 vcc, 0, v12
	s_and_b64 exec, exec, vcc
	s_cbranch_execnz .LBB72_47
.LBB72_31:
	s_endpgm
.LBB72_32:
	s_cmp_eq_u32 s13, 0
	v_mbcnt_lo_u32_b32 v0, -1, 0
	s_cselect_b64 s[4:5], -1, 0
	v_mbcnt_hi_u32_b32 v0, -1, v0
	v_cndmask_b32_e64 v5, 0, 1, s[4:5]
	v_and_b32_e32 v0, 64, v0
	v_lshl_add_u32 v17, v12, 4, v18
	s_mov_b64 s[20:21], 0
	v_cmp_ne_u32_e64 s[6:7], 1, v5
                                        ; implicit-def: $sgpr14_sgpr15
	s_and_b64 vcc, exec, s[6:7]
	s_cbranch_vccz .LBB72_34
.LBB72_33:
	v_mov_b32_e32 v5, 0
	v_mov_b32_e32 v7, 0
	;; [unrolled: 1-line block ×4, first 2 shown]
	s_branch .LBB72_35
.LBB72_34:
	ds_read_b128 v[5:8], v18
.LBB72_35:
	s_waitcnt lgkmcnt(0)
	v_cmp_neq_f64_e32 vcc, 0, v[5:6]
	v_cmp_neq_f64_e64 s[4:5], 0, v[7:8]
	v_and_or_b32 v13, s22, 63, v0
	v_lshlrev_b32_e32 v14, 2, v13
	ds_bpermute_b32 v15, v14, v1
	ds_bpermute_b32 v16, v14, v2
	;; [unrolled: 1-line block ×4, first 2 shown]
	s_or_b64 s[14:15], s[14:15], exec
	s_or_b64 s[26:27], vcc, s[4:5]
	s_and_saveexec_b64 s[4:5], s[26:27]
	s_cbranch_execz .LBB72_37
; %bb.36:
	v_mul_f64 v[19:20], v[7:8], v[7:8]
	s_andn2_b64 s[14:15], s[14:15], exec
	s_and_b64 s[20:21], s[20:21], exec
	s_or_b64 s[14:15], s[14:15], s[20:21]
	v_fma_f64 v[19:20], v[5:6], v[5:6], v[19:20]
	v_div_scale_f64 v[21:22], s[26:27], v[19:20], v[19:20], 1.0
	v_rcp_f64_e32 v[23:24], v[21:22]
	v_fma_f64 v[25:26], -v[21:22], v[23:24], 1.0
	v_fma_f64 v[23:24], v[23:24], v[25:26], v[23:24]
	v_div_scale_f64 v[25:26], vcc, 1.0, v[19:20], 1.0
	v_fma_f64 v[27:28], -v[21:22], v[23:24], 1.0
	v_fma_f64 v[23:24], v[23:24], v[27:28], v[23:24]
	v_mul_f64 v[27:28], v[25:26], v[23:24]
	v_fma_f64 v[21:22], -v[21:22], v[27:28], v[25:26]
	v_div_fmas_f64 v[21:22], v[21:22], v[23:24], v[27:28]
	s_waitcnt lgkmcnt(0)
	v_mul_f64 v[23:24], v[7:8], v[13:14]
	v_mul_f64 v[7:8], v[7:8], -v[15:16]
	v_fma_f64 v[15:16], v[15:16], v[5:6], v[23:24]
	v_fma_f64 v[5:6], v[13:14], v[5:6], v[7:8]
	v_div_fixup_f64 v[19:20], v[21:22], v[19:20], 1.0
	v_mul_f64 v[15:16], v[19:20], v[15:16]
	v_mul_f64 v[13:14], v[19:20], v[5:6]
.LBB72_37:
	s_or_b64 exec, exec, s[4:5]
	s_and_saveexec_b64 s[4:5], s[10:11]
	s_cbranch_execz .LBB72_43
; %bb.38:
	v_cmp_ge_u32_e32 vcc, s22, v12
	s_and_saveexec_b64 s[20:21], vcc
	s_xor_b64 s[20:21], exec, s[20:21]
	s_cbranch_execz .LBB72_40
; %bb.39:
	v_cmp_eq_u32_e32 vcc, s22, v12
	s_waitcnt lgkmcnt(2)
	v_cndmask_b32_e32 v2, v2, v16, vcc
	v_cndmask_b32_e32 v1, v1, v15, vcc
	s_waitcnt lgkmcnt(0)
	v_cndmask_b32_e32 v4, v4, v14, vcc
	v_cndmask_b32_e32 v3, v3, v13, vcc
                                        ; implicit-def: $vgpr15_vgpr16
                                        ; implicit-def: $vgpr13_vgpr14
.LBB72_40:
	s_andn2_saveexec_b64 s[20:21], s[20:21]
	s_cbranch_execz .LBB72_42
; %bb.41:
	ds_read_b128 v[5:8], v17
	s_waitcnt lgkmcnt(0)
	v_fma_f64 v[1:2], -v[15:16], v[5:6], v[1:2]
	v_fma_f64 v[3:4], -v[13:14], v[5:6], v[3:4]
	v_fma_f64 v[1:2], v[13:14], v[7:8], v[1:2]
	v_fma_f64 v[3:4], -v[15:16], v[7:8], v[3:4]
.LBB72_42:
	s_or_b64 exec, exec, s[20:21]
.LBB72_43:
	s_or_b64 exec, exec, s[4:5]
	s_add_i32 s22, s22, 1
	v_add_u32_e32 v17, 0x80, v17
	s_cmp_lg_u32 s33, s22
	v_add_u32_e32 v18, 0x90, v18
	s_cbranch_scc0 .LBB72_45
; %bb.44:
	s_mov_b64 s[20:21], s[14:15]
	s_and_b64 vcc, exec, s[6:7]
	s_cbranch_vccnz .LBB72_33
	s_branch .LBB72_34
.LBB72_45:
	s_and_b64 s[4:5], s[14:15], exec
	s_or_b64 exec, exec, s[8:9]
	s_and_saveexec_b64 s[6:7], s[10:11]
	s_cbranch_execz .LBB72_30
.LBB72_46:
	s_waitcnt lgkmcnt(0)
	v_mad_u64_u32 v[5:6], s[8:9], v9, s33, v[12:13]
	v_mov_b32_e32 v0, s17
	v_ashrrev_i32_e32 v6, 31, v5
	v_lshlrev_b64 v[5:6], 4, v[5:6]
	v_add_co_u32_e32 v5, vcc, s16, v5
	v_addc_co_u32_e32 v6, vcc, v0, v6, vcc
	global_store_dwordx4 v[5:6], v[1:4], off
	s_or_b64 exec, exec, s[6:7]
	v_cmp_eq_u32_e32 vcc, 0, v12
	s_and_b64 exec, exec, vcc
	s_cbranch_execz .LBB72_31
.LBB72_47:
	v_mov_b32_e32 v1, s19
	v_add_co_u32_e32 v0, vcc, s18, v10
	v_addc_co_u32_e32 v1, vcc, v1, v11, vcc
	v_mov_b32_e32 v2, 1
	s_waitcnt vmcnt(0) lgkmcnt(0)
	global_store_dword v[0:1], v2, off
	s_and_b64 exec, exec, s[4:5]
	s_cbranch_execz .LBB72_31
; %bb.48:
	s_mov_b64 s[4:5], exec
	v_add_u32_e32 v0, s12, v9
	s_brev_b32 s6, -2
.LBB72_49:                              ; =>This Inner Loop Header: Depth=1
	s_ff1_i32_b64 s7, s[4:5]
	v_readlane_b32 s10, v0, s7
	s_lshl_b64 s[8:9], 1, s7
	s_min_i32 s6, s6, s10
	s_andn2_b64 s[4:5], s[4:5], s[8:9]
	s_cmp_lg_u64 s[4:5], 0
	s_cbranch_scc1 .LBB72_49
; %bb.50:
	v_mbcnt_lo_u32_b32 v0, exec_lo, 0
	v_mbcnt_hi_u32_b32 v0, exec_hi, v0
	v_cmp_eq_u32_e32 vcc, 0, v0
	s_and_saveexec_b64 s[4:5], vcc
	s_xor_b64 s[4:5], exec, s[4:5]
	s_cbranch_execz .LBB72_31
; %bb.51:
	v_mov_b32_e32 v0, 0
	v_mov_b32_e32 v1, s6
	global_atomic_smin v0, v1, s[24:25]
	s_endpgm
	.section	.rodata,"a",@progbits
	.p2align	6, 0x0
	.amdhsa_kernel _ZN9rocsparseL18bsrsv_lower_sharedILj128ELj64ELi8ELb1E21rocsparse_complex_numIdEEEviNS_24const_host_device_scalarIT3_EEPKiS7_PKS4_iS9_PS4_PiSB_SB_21rocsparse_index_base_20rocsparse_diag_type_20rocsparse_direction_b
		.amdhsa_group_segment_fixed_size 2304
		.amdhsa_private_segment_fixed_size 16
		.amdhsa_kernarg_size 112
		.amdhsa_user_sgpr_count 8
		.amdhsa_user_sgpr_private_segment_buffer 1
		.amdhsa_user_sgpr_dispatch_ptr 0
		.amdhsa_user_sgpr_queue_ptr 0
		.amdhsa_user_sgpr_kernarg_segment_ptr 1
		.amdhsa_user_sgpr_dispatch_id 0
		.amdhsa_user_sgpr_flat_scratch_init 1
		.amdhsa_user_sgpr_private_segment_size 0
		.amdhsa_uses_dynamic_stack 0
		.amdhsa_system_sgpr_private_segment_wavefront_offset 1
		.amdhsa_system_sgpr_workgroup_id_x 1
		.amdhsa_system_sgpr_workgroup_id_y 0
		.amdhsa_system_sgpr_workgroup_id_z 0
		.amdhsa_system_sgpr_workgroup_info 0
		.amdhsa_system_vgpr_workitem_id 0
		.amdhsa_next_free_vgpr 37
		.amdhsa_next_free_sgpr 59
		.amdhsa_reserve_vcc 1
		.amdhsa_reserve_flat_scratch 1
		.amdhsa_float_round_mode_32 0
		.amdhsa_float_round_mode_16_64 0
		.amdhsa_float_denorm_mode_32 3
		.amdhsa_float_denorm_mode_16_64 3
		.amdhsa_dx10_clamp 1
		.amdhsa_ieee_mode 1
		.amdhsa_fp16_overflow 0
		.amdhsa_exception_fp_ieee_invalid_op 0
		.amdhsa_exception_fp_denorm_src 0
		.amdhsa_exception_fp_ieee_div_zero 0
		.amdhsa_exception_fp_ieee_overflow 0
		.amdhsa_exception_fp_ieee_underflow 0
		.amdhsa_exception_fp_ieee_inexact 0
		.amdhsa_exception_int_div_zero 0
	.end_amdhsa_kernel
	.section	.text._ZN9rocsparseL18bsrsv_lower_sharedILj128ELj64ELi8ELb1E21rocsparse_complex_numIdEEEviNS_24const_host_device_scalarIT3_EEPKiS7_PKS4_iS9_PS4_PiSB_SB_21rocsparse_index_base_20rocsparse_diag_type_20rocsparse_direction_b,"axG",@progbits,_ZN9rocsparseL18bsrsv_lower_sharedILj128ELj64ELi8ELb1E21rocsparse_complex_numIdEEEviNS_24const_host_device_scalarIT3_EEPKiS7_PKS4_iS9_PS4_PiSB_SB_21rocsparse_index_base_20rocsparse_diag_type_20rocsparse_direction_b,comdat
.Lfunc_end72:
	.size	_ZN9rocsparseL18bsrsv_lower_sharedILj128ELj64ELi8ELb1E21rocsparse_complex_numIdEEEviNS_24const_host_device_scalarIT3_EEPKiS7_PKS4_iS9_PS4_PiSB_SB_21rocsparse_index_base_20rocsparse_diag_type_20rocsparse_direction_b, .Lfunc_end72-_ZN9rocsparseL18bsrsv_lower_sharedILj128ELj64ELi8ELb1E21rocsparse_complex_numIdEEEviNS_24const_host_device_scalarIT3_EEPKiS7_PKS4_iS9_PS4_PiSB_SB_21rocsparse_index_base_20rocsparse_diag_type_20rocsparse_direction_b
                                        ; -- End function
	.set _ZN9rocsparseL18bsrsv_lower_sharedILj128ELj64ELi8ELb1E21rocsparse_complex_numIdEEEviNS_24const_host_device_scalarIT3_EEPKiS7_PKS4_iS9_PS4_PiSB_SB_21rocsparse_index_base_20rocsparse_diag_type_20rocsparse_direction_b.num_vgpr, 37
	.set _ZN9rocsparseL18bsrsv_lower_sharedILj128ELj64ELi8ELb1E21rocsparse_complex_numIdEEEviNS_24const_host_device_scalarIT3_EEPKiS7_PKS4_iS9_PS4_PiSB_SB_21rocsparse_index_base_20rocsparse_diag_type_20rocsparse_direction_b.num_agpr, 0
	.set _ZN9rocsparseL18bsrsv_lower_sharedILj128ELj64ELi8ELb1E21rocsparse_complex_numIdEEEviNS_24const_host_device_scalarIT3_EEPKiS7_PKS4_iS9_PS4_PiSB_SB_21rocsparse_index_base_20rocsparse_diag_type_20rocsparse_direction_b.numbered_sgpr, 38
	.set _ZN9rocsparseL18bsrsv_lower_sharedILj128ELj64ELi8ELb1E21rocsparse_complex_numIdEEEviNS_24const_host_device_scalarIT3_EEPKiS7_PKS4_iS9_PS4_PiSB_SB_21rocsparse_index_base_20rocsparse_diag_type_20rocsparse_direction_b.num_named_barrier, 0
	.set _ZN9rocsparseL18bsrsv_lower_sharedILj128ELj64ELi8ELb1E21rocsparse_complex_numIdEEEviNS_24const_host_device_scalarIT3_EEPKiS7_PKS4_iS9_PS4_PiSB_SB_21rocsparse_index_base_20rocsparse_diag_type_20rocsparse_direction_b.private_seg_size, 16
	.set _ZN9rocsparseL18bsrsv_lower_sharedILj128ELj64ELi8ELb1E21rocsparse_complex_numIdEEEviNS_24const_host_device_scalarIT3_EEPKiS7_PKS4_iS9_PS4_PiSB_SB_21rocsparse_index_base_20rocsparse_diag_type_20rocsparse_direction_b.uses_vcc, 1
	.set _ZN9rocsparseL18bsrsv_lower_sharedILj128ELj64ELi8ELb1E21rocsparse_complex_numIdEEEviNS_24const_host_device_scalarIT3_EEPKiS7_PKS4_iS9_PS4_PiSB_SB_21rocsparse_index_base_20rocsparse_diag_type_20rocsparse_direction_b.uses_flat_scratch, 1
	.set _ZN9rocsparseL18bsrsv_lower_sharedILj128ELj64ELi8ELb1E21rocsparse_complex_numIdEEEviNS_24const_host_device_scalarIT3_EEPKiS7_PKS4_iS9_PS4_PiSB_SB_21rocsparse_index_base_20rocsparse_diag_type_20rocsparse_direction_b.has_dyn_sized_stack, 0
	.set _ZN9rocsparseL18bsrsv_lower_sharedILj128ELj64ELi8ELb1E21rocsparse_complex_numIdEEEviNS_24const_host_device_scalarIT3_EEPKiS7_PKS4_iS9_PS4_PiSB_SB_21rocsparse_index_base_20rocsparse_diag_type_20rocsparse_direction_b.has_recursion, 0
	.set _ZN9rocsparseL18bsrsv_lower_sharedILj128ELj64ELi8ELb1E21rocsparse_complex_numIdEEEviNS_24const_host_device_scalarIT3_EEPKiS7_PKS4_iS9_PS4_PiSB_SB_21rocsparse_index_base_20rocsparse_diag_type_20rocsparse_direction_b.has_indirect_call, 0
	.section	.AMDGPU.csdata,"",@progbits
; Kernel info:
; codeLenInByte = 2220
; TotalNumSgprs: 44
; NumVgprs: 37
; ScratchSize: 16
; MemoryBound: 1
; FloatMode: 240
; IeeeMode: 1
; LDSByteSize: 2304 bytes/workgroup (compile time only)
; SGPRBlocks: 8
; VGPRBlocks: 9
; NumSGPRsForWavesPerEU: 65
; NumVGPRsForWavesPerEU: 37
; Occupancy: 6
; WaveLimiterHint : 1
; COMPUTE_PGM_RSRC2:SCRATCH_EN: 1
; COMPUTE_PGM_RSRC2:USER_SGPR: 8
; COMPUTE_PGM_RSRC2:TRAP_HANDLER: 0
; COMPUTE_PGM_RSRC2:TGID_X_EN: 1
; COMPUTE_PGM_RSRC2:TGID_Y_EN: 0
; COMPUTE_PGM_RSRC2:TGID_Z_EN: 0
; COMPUTE_PGM_RSRC2:TIDIG_COMP_CNT: 0
	.section	.text._ZN9rocsparseL18bsrsv_lower_sharedILj128ELj64ELi8ELb0E21rocsparse_complex_numIdEEEviNS_24const_host_device_scalarIT3_EEPKiS7_PKS4_iS9_PS4_PiSB_SB_21rocsparse_index_base_20rocsparse_diag_type_20rocsparse_direction_b,"axG",@progbits,_ZN9rocsparseL18bsrsv_lower_sharedILj128ELj64ELi8ELb0E21rocsparse_complex_numIdEEEviNS_24const_host_device_scalarIT3_EEPKiS7_PKS4_iS9_PS4_PiSB_SB_21rocsparse_index_base_20rocsparse_diag_type_20rocsparse_direction_b,comdat
	.globl	_ZN9rocsparseL18bsrsv_lower_sharedILj128ELj64ELi8ELb0E21rocsparse_complex_numIdEEEviNS_24const_host_device_scalarIT3_EEPKiS7_PKS4_iS9_PS4_PiSB_SB_21rocsparse_index_base_20rocsparse_diag_type_20rocsparse_direction_b ; -- Begin function _ZN9rocsparseL18bsrsv_lower_sharedILj128ELj64ELi8ELb0E21rocsparse_complex_numIdEEEviNS_24const_host_device_scalarIT3_EEPKiS7_PKS4_iS9_PS4_PiSB_SB_21rocsparse_index_base_20rocsparse_diag_type_20rocsparse_direction_b
	.p2align	8
	.type	_ZN9rocsparseL18bsrsv_lower_sharedILj128ELj64ELi8ELb0E21rocsparse_complex_numIdEEEviNS_24const_host_device_scalarIT3_EEPKiS7_PKS4_iS9_PS4_PiSB_SB_21rocsparse_index_base_20rocsparse_diag_type_20rocsparse_direction_b,@function
_ZN9rocsparseL18bsrsv_lower_sharedILj128ELj64ELi8ELb0E21rocsparse_complex_numIdEEEviNS_24const_host_device_scalarIT3_EEPKiS7_PKS4_iS9_PS4_PiSB_SB_21rocsparse_index_base_20rocsparse_diag_type_20rocsparse_direction_b: ; @_ZN9rocsparseL18bsrsv_lower_sharedILj128ELj64ELi8ELb0E21rocsparse_complex_numIdEEEviNS_24const_host_device_scalarIT3_EEPKiS7_PKS4_iS9_PS4_PiSB_SB_21rocsparse_index_base_20rocsparse_diag_type_20rocsparse_direction_b
; %bb.0:
	s_add_u32 flat_scratch_lo, s6, s9
	s_load_dwordx4 s[12:15], s[4:5], 0x60
	s_load_dwordx4 s[16:19], s[4:5], 0x8
	s_addc_u32 flat_scratch_hi, s7, 0
	s_add_u32 s0, s0, s9
	s_addc_u32 s1, s1, 0
	s_waitcnt lgkmcnt(0)
	s_bitcmp1_b32 s15, 0
	s_cselect_b64 s[10:11], -1, 0
	s_mov_b64 s[6:7], src_private_base
	v_mov_b32_e32 v1, s17
	s_and_b64 vcc, s[10:11], exec
	buffer_store_dword v1, off, s[0:3], 0 offset:4
	v_mov_b32_e32 v1, s16
	s_cselect_b32 s6, s7, s17
	s_cselect_b32 s7, 0, s16
	buffer_store_dword v1, off, s[0:3], 0
	v_mov_b32_e32 v1, s7
	v_mov_b32_e32 v2, s6
	flat_load_dwordx2 v[1:2], v[1:2]
	v_mov_b32_e32 v7, s18
	v_mov_b32_e32 v8, s19
	s_cbranch_vccnz .LBB73_2
; %bb.1:
	v_mov_b32_e32 v3, s16
	v_mov_b32_e32 v4, s17
	flat_load_dwordx2 v[7:8], v[3:4] offset:8
.LBB73_2:
	s_load_dword s9, s[4:5], 0x0
	s_lshl_b32 s6, s8, 1
	v_lshrrev_b32_e32 v15, 6, v0
	s_and_b32 s6, s6, 0x3fffffe
	v_or_b32_e32 v3, s6, v15
	s_waitcnt lgkmcnt(0)
	v_cmp_gt_i32_e32 vcc, s9, v3
	s_and_saveexec_b64 s[6:7], vcc
	s_cbranch_execz .LBB73_29
; %bb.3:
	s_load_dwordx2 s[6:7], s[4:5], 0x50
	s_load_dwordx4 s[16:19], s[4:5], 0x40
	v_lshlrev_b32_e32 v3, 2, v3
	v_and_b32_e32 v12, 63, v0
	v_mov_b32_e32 v5, 0
	s_waitcnt lgkmcnt(0)
	global_load_dword v9, v3, s[6:7]
	s_load_dwordx2 s[6:7], s[4:5], 0x18
	s_load_dword s33, s[4:5], 0x30
	v_mov_b32_e32 v6, 0
	s_waitcnt lgkmcnt(0)
	v_mov_b32_e32 v4, s7
	v_cmp_gt_i32_e64 s[10:11], s33, v12
	s_waitcnt vmcnt(0)
	v_ashrrev_i32_e32 v10, 31, v9
	v_lshlrev_b64 v[10:11], 2, v[9:10]
	v_add_co_u32_e32 v3, vcc, s6, v10
	v_addc_co_u32_e32 v4, vcc, v4, v11, vcc
	global_load_dwordx2 v[13:14], v[3:4], off
	v_mov_b32_e32 v3, 0
	v_mov_b32_e32 v4, 0
	s_and_saveexec_b64 s[6:7], s[10:11]
	s_cbranch_execz .LBB73_5
; %bb.4:
	s_waitcnt vmcnt(0)
	v_mad_u64_u32 v[3:4], s[20:21], v9, s33, v[12:13]
	s_load_dwordx2 s[20:21], s[4:5], 0x38
	v_ashrrev_i32_e32 v4, 31, v3
	v_lshlrev_b64 v[3:4], 4, v[3:4]
	s_waitcnt lgkmcnt(0)
	v_mov_b32_e32 v5, s21
	v_add_co_u32_e32 v3, vcc, s20, v3
	v_addc_co_u32_e32 v4, vcc, v5, v4, vcc
	global_load_dwordx4 v[3:6], v[3:4], off
.LBB73_5:
	s_or_b64 exec, exec, s[6:7]
	s_waitcnt vmcnt(0)
	v_mul_f64 v[16:17], v[5:6], -v[7:8]
	v_mul_f64 v[5:6], v[1:2], v[5:6]
	s_load_dwordx2 s[24:25], s[4:5], 0x58
	v_cmp_lt_i32_e32 vcc, v13, v14
	v_fma_f64 v[1:2], v[1:2], v[3:4], v[16:17]
	v_fma_f64 v[3:4], v[7:8], v[3:4], v[5:6]
	v_and_b32_e32 v5, 64, v0
	v_lshlrev_b32_e32 v18, 4, v5
	v_mov_b32_e32 v16, s9
	s_and_saveexec_b64 s[26:27], vcc
	s_cbranch_execz .LBB73_26
; %bb.6:
	s_load_dwordx4 s[20:23], s[4:5], 0x20
	v_mov_b32_e32 v5, 0x800
	v_lshl_or_b32 v19, v15, 7, v5
	v_and_b32_e32 v0, 7, v0
	v_lshrrev_b32_e32 v15, 3, v12
	v_lshlrev_b32_e32 v6, 4, v12
	v_add_u32_e32 v21, v19, v6
	v_add_u32_e32 v22, v18, v6
	v_max_i32_e32 v6, v0, v15
	s_cmp_lg_u32 s14, 0
	v_lshl_add_u32 v5, v0, 4, v18
	v_cmp_gt_i32_e64 s[8:9], s33, v6
	v_lshlrev_b32_e32 v6, 7, v15
	v_subrev_u32_e32 v13, s12, v13
	v_subrev_u32_e32 v20, s12, v14
	s_cselect_b64 s[14:15], -1, 0
	v_cmp_gt_u32_e64 s[6:7], 8, v12
	s_mov_b64 s[28:29], 0
	s_waitcnt lgkmcnt(0)
	v_mov_b32_e32 v23, s21
	v_add_u32_e32 v24, v5, v6
	s_branch .LBB73_9
.LBB73_7:                               ;   in Loop: Header=BB73_9 Depth=1
	s_or_b64 exec, exec, s[4:5]
.LBB73_8:                               ;   in Loop: Header=BB73_9 Depth=1
	s_or_b64 exec, exec, s[30:31]
	v_add_u32_e32 v13, 1, v13
	v_cmp_ge_i32_e64 s[4:5], v13, v20
	s_xor_b64 s[30:31], vcc, -1
	s_or_b64 s[4:5], s[30:31], s[4:5]
	s_and_b64 s[4:5], exec, s[4:5]
	s_or_b64 s[28:29], s[4:5], s[28:29]
	s_andn2_b64 exec, exec, s[28:29]
	s_cbranch_execz .LBB73_25
.LBB73_9:                               ; =>This Loop Header: Depth=1
                                        ;     Child Loop BB73_17 Depth 2
	v_ashrrev_i32_e32 v14, 31, v13
	v_lshlrev_b64 v[5:6], 2, v[13:14]
	v_mov_b32_e32 v7, 0
	v_add_co_u32_e32 v5, vcc, s20, v5
	v_addc_co_u32_e32 v6, vcc, v23, v6, vcc
	global_load_dword v14, v[5:6], off
	v_mov_b32_e32 v5, 0
	v_mov_b32_e32 v6, 0
	;; [unrolled: 1-line block ×3, first 2 shown]
	s_and_saveexec_b64 s[4:5], s[8:9]
	s_cbranch_execz .LBB73_14
; %bb.10:                               ;   in Loop: Header=BB73_9 Depth=1
	v_mul_lo_u32 v7, v13, s33
	s_and_b64 vcc, exec, s[14:15]
	s_cbranch_vccz .LBB73_24
; %bb.11:                               ;   in Loop: Header=BB73_9 Depth=1
	v_add_u32_e32 v5, v7, v15
	v_mad_u64_u32 v[5:6], s[30:31], v5, s33, v[0:1]
	s_cbranch_execnz .LBB73_13
.LBB73_12:                              ;   in Loop: Header=BB73_9 Depth=1
	v_add_u32_e32 v5, v7, v0
	v_mad_u64_u32 v[5:6], s[30:31], v5, s33, v[15:16]
.LBB73_13:                              ;   in Loop: Header=BB73_9 Depth=1
	v_ashrrev_i32_e32 v6, 31, v5
	v_lshlrev_b64 v[5:6], 4, v[5:6]
	v_mov_b32_e32 v7, s23
	v_add_co_u32_e32 v5, vcc, s22, v5
	v_addc_co_u32_e32 v6, vcc, v7, v6, vcc
	global_load_dwordx4 v[5:8], v[5:6], off
.LBB73_14:                              ;   in Loop: Header=BB73_9 Depth=1
	s_or_b64 exec, exec, s[4:5]
	s_waitcnt vmcnt(0)
	v_subrev_u32_e32 v16, s12, v14
	v_cmp_lt_i32_e32 vcc, v16, v9
	ds_write_b128 v24, v[5:8]
	s_and_saveexec_b64 s[30:31], vcc
	s_cbranch_execz .LBB73_8
; %bb.15:                               ;   in Loop: Header=BB73_9 Depth=1
	v_ashrrev_i32_e32 v17, 31, v16
	v_lshlrev_b64 v[5:6], 2, v[16:17]
	v_mov_b32_e32 v7, s19
	v_add_co_u32_e64 v5, s[4:5], s18, v5
	v_addc_co_u32_e64 v6, s[4:5], v7, v6, s[4:5]
	global_load_dword v7, v[5:6], off glc
	s_waitcnt vmcnt(0)
	v_cmp_eq_u32_e64 s[4:5], 0, v7
	s_and_saveexec_b64 s[34:35], s[4:5]
	s_cbranch_execz .LBB73_18
; %bb.16:                               ;   in Loop: Header=BB73_9 Depth=1
	s_mov_b64 s[36:37], 0
.LBB73_17:                              ;   Parent Loop BB73_9 Depth=1
                                        ; =>  This Inner Loop Header: Depth=2
	global_load_dword v7, v[5:6], off glc
	s_waitcnt vmcnt(0)
	v_cmp_ne_u32_e64 s[4:5], 0, v7
	s_or_b64 s[36:37], s[4:5], s[36:37]
	s_andn2_b64 exec, exec, s[36:37]
	s_cbranch_execnz .LBB73_17
.LBB73_18:                              ;   in Loop: Header=BB73_9 Depth=1
	s_or_b64 exec, exec, s[34:35]
	s_waitcnt lgkmcnt(0)
	buffer_wbinvl1_vol
	s_and_saveexec_b64 s[34:35], s[6:7]
	s_cbranch_execz .LBB73_22
; %bb.19:                               ;   in Loop: Header=BB73_9 Depth=1
	v_mov_b32_e32 v7, 0
	v_mov_b32_e32 v5, 0
	v_mov_b32_e32 v8, 0
	v_mov_b32_e32 v6, 0
	s_and_saveexec_b64 s[36:37], s[10:11]
	s_cbranch_execz .LBB73_21
; %bb.20:                               ;   in Loop: Header=BB73_9 Depth=1
	v_mad_u64_u32 v[5:6], s[4:5], v16, s33, v[12:13]
	v_mov_b32_e32 v7, s17
	v_ashrrev_i32_e32 v6, 31, v5
	v_lshlrev_b64 v[5:6], 4, v[5:6]
	v_add_co_u32_e64 v5, s[4:5], s16, v5
	v_addc_co_u32_e64 v6, s[4:5], v7, v6, s[4:5]
	global_load_dwordx4 v[5:8], v[5:6], off
.LBB73_21:                              ;   in Loop: Header=BB73_9 Depth=1
	s_or_b64 exec, exec, s[36:37]
	s_waitcnt vmcnt(0)
	ds_write_b128 v21, v[5:8]
.LBB73_22:                              ;   in Loop: Header=BB73_9 Depth=1
	s_or_b64 exec, exec, s[34:35]
	s_waitcnt lgkmcnt(0)
	s_and_saveexec_b64 s[4:5], s[10:11]
	s_cbranch_execz .LBB73_7
; %bb.23:                               ;   in Loop: Header=BB73_9 Depth=1
	ds_read_b128 v[5:8], v22
	ds_read_b128 v[25:28], v19
	ds_read_b128 v[29:32], v19 offset:16
	ds_read_b128 v[33:36], v22 offset:128
	s_waitcnt lgkmcnt(2)
	v_fma_f64 v[1:2], -v[5:6], v[25:26], v[1:2]
	v_fma_f64 v[3:4], -v[7:8], v[25:26], v[3:4]
	v_fma_f64 v[1:2], v[7:8], v[27:28], v[1:2]
	v_fma_f64 v[3:4], -v[5:6], v[27:28], v[3:4]
	s_waitcnt lgkmcnt(0)
	v_fma_f64 v[1:2], -v[33:34], v[29:30], v[1:2]
	v_fma_f64 v[3:4], -v[35:36], v[29:30], v[3:4]
	v_fma_f64 v[35:36], v[35:36], v[31:32], v[1:2]
	v_fma_f64 v[33:34], -v[33:34], v[31:32], v[3:4]
	ds_read_b128 v[1:4], v22 offset:256
	ds_read_b128 v[5:8], v19 offset:32
	ds_read_b128 v[25:28], v19 offset:48
	ds_read_b128 v[29:32], v22 offset:384
	s_waitcnt lgkmcnt(2)
	v_fma_f64 v[35:36], -v[1:2], v[5:6], v[35:36]
	v_fma_f64 v[5:6], -v[3:4], v[5:6], v[33:34]
	v_fma_f64 v[3:4], v[3:4], v[7:8], v[35:36]
	v_fma_f64 v[1:2], -v[1:2], v[7:8], v[5:6]
	s_waitcnt lgkmcnt(0)
	v_fma_f64 v[3:4], -v[29:30], v[25:26], v[3:4]
	v_fma_f64 v[1:2], -v[31:32], v[25:26], v[1:2]
	v_fma_f64 v[33:34], v[31:32], v[27:28], v[3:4]
	v_fma_f64 v[35:36], -v[29:30], v[27:28], v[1:2]
	ds_read_b128 v[1:4], v19 offset:64
	ds_read_b128 v[5:8], v22 offset:512
	;; [unrolled: 14-line block ×3, first 2 shown]
	ds_read_b128 v[25:28], v22 offset:896
	ds_read_b128 v[29:32], v19 offset:112
	s_waitcnt lgkmcnt(2)
	v_fma_f64 v[33:34], -v[5:6], v[1:2], v[33:34]
	v_fma_f64 v[1:2], -v[7:8], v[1:2], v[35:36]
	v_fma_f64 v[7:8], v[7:8], v[3:4], v[33:34]
	v_fma_f64 v[1:2], -v[5:6], v[3:4], v[1:2]
	s_waitcnt lgkmcnt(0)
	v_fma_f64 v[3:4], -v[25:26], v[29:30], v[7:8]
	v_fma_f64 v[5:6], -v[27:28], v[29:30], v[1:2]
	v_fma_f64 v[1:2], v[27:28], v[31:32], v[3:4]
	v_fma_f64 v[3:4], -v[25:26], v[31:32], v[5:6]
	s_branch .LBB73_7
.LBB73_24:                              ;   in Loop: Header=BB73_9 Depth=1
                                        ; implicit-def: $vgpr5
	s_branch .LBB73_12
.LBB73_25:
	s_or_b64 exec, exec, s[28:29]
.LBB73_26:
	s_or_b64 exec, exec, s[26:27]
	s_cmp_gt_i32 s33, 0
	v_cmp_eq_u32_e32 vcc, v16, v9
	s_cselect_b64 s[4:5], -1, 0
	s_mov_b32 s22, 0
	s_and_b64 s[6:7], s[4:5], vcc
	s_mov_b64 s[4:5], 0
	s_and_saveexec_b64 s[8:9], s[6:7]
	s_cbranch_execnz .LBB73_30
; %bb.27:
	s_or_b64 exec, exec, s[8:9]
	s_and_saveexec_b64 s[6:7], s[10:11]
	s_cbranch_execnz .LBB73_44
.LBB73_28:
	s_or_b64 exec, exec, s[6:7]
	v_cmp_eq_u32_e32 vcc, 0, v12
	s_and_b64 exec, exec, vcc
	s_cbranch_execnz .LBB73_45
.LBB73_29:
	s_endpgm
.LBB73_30:
	s_cmp_eq_u32 s13, 0
	v_mbcnt_lo_u32_b32 v0, -1, 0
	s_cselect_b64 s[4:5], -1, 0
	v_mbcnt_hi_u32_b32 v0, -1, v0
	v_cndmask_b32_e64 v5, 0, 1, s[4:5]
	v_and_b32_e32 v0, 64, v0
	v_lshl_add_u32 v17, v12, 4, v18
	s_mov_b64 s[20:21], 0
	v_cmp_ne_u32_e64 s[6:7], 1, v5
                                        ; implicit-def: $sgpr14_sgpr15
	s_and_b64 vcc, exec, s[6:7]
	s_cbranch_vccz .LBB73_32
.LBB73_31:
	v_mov_b32_e32 v5, 0
	v_mov_b32_e32 v7, 0
	;; [unrolled: 1-line block ×4, first 2 shown]
	s_branch .LBB73_33
.LBB73_32:
	ds_read_b128 v[5:8], v18
.LBB73_33:
	s_waitcnt lgkmcnt(0)
	v_cmp_neq_f64_e32 vcc, 0, v[5:6]
	v_cmp_neq_f64_e64 s[4:5], 0, v[7:8]
	v_and_or_b32 v13, s22, 63, v0
	v_lshlrev_b32_e32 v14, 2, v13
	ds_bpermute_b32 v15, v14, v1
	ds_bpermute_b32 v16, v14, v2
	;; [unrolled: 1-line block ×4, first 2 shown]
	s_or_b64 s[14:15], s[14:15], exec
	s_or_b64 s[26:27], vcc, s[4:5]
	s_and_saveexec_b64 s[4:5], s[26:27]
	s_cbranch_execz .LBB73_35
; %bb.34:
	v_mul_f64 v[19:20], v[7:8], v[7:8]
	s_andn2_b64 s[14:15], s[14:15], exec
	s_and_b64 s[20:21], s[20:21], exec
	s_or_b64 s[14:15], s[14:15], s[20:21]
	v_fma_f64 v[19:20], v[5:6], v[5:6], v[19:20]
	v_div_scale_f64 v[21:22], s[26:27], v[19:20], v[19:20], 1.0
	v_rcp_f64_e32 v[23:24], v[21:22]
	v_fma_f64 v[25:26], -v[21:22], v[23:24], 1.0
	v_fma_f64 v[23:24], v[23:24], v[25:26], v[23:24]
	v_div_scale_f64 v[25:26], vcc, 1.0, v[19:20], 1.0
	v_fma_f64 v[27:28], -v[21:22], v[23:24], 1.0
	v_fma_f64 v[23:24], v[23:24], v[27:28], v[23:24]
	v_mul_f64 v[27:28], v[25:26], v[23:24]
	v_fma_f64 v[21:22], -v[21:22], v[27:28], v[25:26]
	v_div_fmas_f64 v[21:22], v[21:22], v[23:24], v[27:28]
	s_waitcnt lgkmcnt(0)
	v_mul_f64 v[23:24], v[7:8], v[13:14]
	v_mul_f64 v[7:8], v[7:8], -v[15:16]
	v_fma_f64 v[15:16], v[15:16], v[5:6], v[23:24]
	v_fma_f64 v[5:6], v[13:14], v[5:6], v[7:8]
	v_div_fixup_f64 v[19:20], v[21:22], v[19:20], 1.0
	v_mul_f64 v[15:16], v[19:20], v[15:16]
	v_mul_f64 v[13:14], v[19:20], v[5:6]
.LBB73_35:
	s_or_b64 exec, exec, s[4:5]
	s_and_saveexec_b64 s[4:5], s[10:11]
	s_cbranch_execz .LBB73_41
; %bb.36:
	v_cmp_ge_u32_e32 vcc, s22, v12
	s_and_saveexec_b64 s[20:21], vcc
	s_xor_b64 s[20:21], exec, s[20:21]
	s_cbranch_execz .LBB73_38
; %bb.37:
	v_cmp_eq_u32_e32 vcc, s22, v12
	s_waitcnt lgkmcnt(2)
	v_cndmask_b32_e32 v2, v2, v16, vcc
	v_cndmask_b32_e32 v1, v1, v15, vcc
	s_waitcnt lgkmcnt(0)
	v_cndmask_b32_e32 v4, v4, v14, vcc
	v_cndmask_b32_e32 v3, v3, v13, vcc
                                        ; implicit-def: $vgpr15_vgpr16
                                        ; implicit-def: $vgpr13_vgpr14
.LBB73_38:
	s_andn2_saveexec_b64 s[20:21], s[20:21]
	s_cbranch_execz .LBB73_40
; %bb.39:
	ds_read_b128 v[5:8], v17
	s_waitcnt lgkmcnt(0)
	v_fma_f64 v[1:2], -v[15:16], v[5:6], v[1:2]
	v_fma_f64 v[3:4], -v[13:14], v[5:6], v[3:4]
	v_fma_f64 v[1:2], v[13:14], v[7:8], v[1:2]
	v_fma_f64 v[3:4], -v[15:16], v[7:8], v[3:4]
.LBB73_40:
	s_or_b64 exec, exec, s[20:21]
.LBB73_41:
	s_or_b64 exec, exec, s[4:5]
	s_add_i32 s22, s22, 1
	v_add_u32_e32 v17, 0x80, v17
	s_cmp_lg_u32 s33, s22
	v_add_u32_e32 v18, 0x90, v18
	s_cbranch_scc0 .LBB73_43
; %bb.42:
	s_mov_b64 s[20:21], s[14:15]
	s_and_b64 vcc, exec, s[6:7]
	s_cbranch_vccnz .LBB73_31
	s_branch .LBB73_32
.LBB73_43:
	s_and_b64 s[4:5], s[14:15], exec
	s_or_b64 exec, exec, s[8:9]
	s_and_saveexec_b64 s[6:7], s[10:11]
	s_cbranch_execz .LBB73_28
.LBB73_44:
	s_waitcnt lgkmcnt(0)
	v_mad_u64_u32 v[5:6], s[8:9], v9, s33, v[12:13]
	v_mov_b32_e32 v0, s17
	v_ashrrev_i32_e32 v6, 31, v5
	v_lshlrev_b64 v[5:6], 4, v[5:6]
	v_add_co_u32_e32 v5, vcc, s16, v5
	v_addc_co_u32_e32 v6, vcc, v0, v6, vcc
	global_store_dwordx4 v[5:6], v[1:4], off
	s_or_b64 exec, exec, s[6:7]
	v_cmp_eq_u32_e32 vcc, 0, v12
	s_and_b64 exec, exec, vcc
	s_cbranch_execz .LBB73_29
.LBB73_45:
	v_mov_b32_e32 v1, s19
	v_add_co_u32_e32 v0, vcc, s18, v10
	v_addc_co_u32_e32 v1, vcc, v1, v11, vcc
	v_mov_b32_e32 v2, 1
	s_waitcnt vmcnt(0) lgkmcnt(0)
	global_store_dword v[0:1], v2, off
	s_and_b64 exec, exec, s[4:5]
	s_cbranch_execz .LBB73_29
; %bb.46:
	s_mov_b64 s[4:5], exec
	v_add_u32_e32 v0, s12, v9
	s_brev_b32 s6, -2
.LBB73_47:                              ; =>This Inner Loop Header: Depth=1
	s_ff1_i32_b64 s7, s[4:5]
	v_readlane_b32 s10, v0, s7
	s_lshl_b64 s[8:9], 1, s7
	s_min_i32 s6, s6, s10
	s_andn2_b64 s[4:5], s[4:5], s[8:9]
	s_cmp_lg_u64 s[4:5], 0
	s_cbranch_scc1 .LBB73_47
; %bb.48:
	v_mbcnt_lo_u32_b32 v0, exec_lo, 0
	v_mbcnt_hi_u32_b32 v0, exec_hi, v0
	v_cmp_eq_u32_e32 vcc, 0, v0
	s_and_saveexec_b64 s[4:5], vcc
	s_xor_b64 s[4:5], exec, s[4:5]
	s_cbranch_execz .LBB73_29
; %bb.49:
	v_mov_b32_e32 v0, 0
	v_mov_b32_e32 v1, s6
	global_atomic_smin v0, v1, s[24:25]
	s_endpgm
	.section	.rodata,"a",@progbits
	.p2align	6, 0x0
	.amdhsa_kernel _ZN9rocsparseL18bsrsv_lower_sharedILj128ELj64ELi8ELb0E21rocsparse_complex_numIdEEEviNS_24const_host_device_scalarIT3_EEPKiS7_PKS4_iS9_PS4_PiSB_SB_21rocsparse_index_base_20rocsparse_diag_type_20rocsparse_direction_b
		.amdhsa_group_segment_fixed_size 2304
		.amdhsa_private_segment_fixed_size 16
		.amdhsa_kernarg_size 112
		.amdhsa_user_sgpr_count 8
		.amdhsa_user_sgpr_private_segment_buffer 1
		.amdhsa_user_sgpr_dispatch_ptr 0
		.amdhsa_user_sgpr_queue_ptr 0
		.amdhsa_user_sgpr_kernarg_segment_ptr 1
		.amdhsa_user_sgpr_dispatch_id 0
		.amdhsa_user_sgpr_flat_scratch_init 1
		.amdhsa_user_sgpr_private_segment_size 0
		.amdhsa_uses_dynamic_stack 0
		.amdhsa_system_sgpr_private_segment_wavefront_offset 1
		.amdhsa_system_sgpr_workgroup_id_x 1
		.amdhsa_system_sgpr_workgroup_id_y 0
		.amdhsa_system_sgpr_workgroup_id_z 0
		.amdhsa_system_sgpr_workgroup_info 0
		.amdhsa_system_vgpr_workitem_id 0
		.amdhsa_next_free_vgpr 37
		.amdhsa_next_free_sgpr 59
		.amdhsa_reserve_vcc 1
		.amdhsa_reserve_flat_scratch 1
		.amdhsa_float_round_mode_32 0
		.amdhsa_float_round_mode_16_64 0
		.amdhsa_float_denorm_mode_32 3
		.amdhsa_float_denorm_mode_16_64 3
		.amdhsa_dx10_clamp 1
		.amdhsa_ieee_mode 1
		.amdhsa_fp16_overflow 0
		.amdhsa_exception_fp_ieee_invalid_op 0
		.amdhsa_exception_fp_denorm_src 0
		.amdhsa_exception_fp_ieee_div_zero 0
		.amdhsa_exception_fp_ieee_overflow 0
		.amdhsa_exception_fp_ieee_underflow 0
		.amdhsa_exception_fp_ieee_inexact 0
		.amdhsa_exception_int_div_zero 0
	.end_amdhsa_kernel
	.section	.text._ZN9rocsparseL18bsrsv_lower_sharedILj128ELj64ELi8ELb0E21rocsparse_complex_numIdEEEviNS_24const_host_device_scalarIT3_EEPKiS7_PKS4_iS9_PS4_PiSB_SB_21rocsparse_index_base_20rocsparse_diag_type_20rocsparse_direction_b,"axG",@progbits,_ZN9rocsparseL18bsrsv_lower_sharedILj128ELj64ELi8ELb0E21rocsparse_complex_numIdEEEviNS_24const_host_device_scalarIT3_EEPKiS7_PKS4_iS9_PS4_PiSB_SB_21rocsparse_index_base_20rocsparse_diag_type_20rocsparse_direction_b,comdat
.Lfunc_end73:
	.size	_ZN9rocsparseL18bsrsv_lower_sharedILj128ELj64ELi8ELb0E21rocsparse_complex_numIdEEEviNS_24const_host_device_scalarIT3_EEPKiS7_PKS4_iS9_PS4_PiSB_SB_21rocsparse_index_base_20rocsparse_diag_type_20rocsparse_direction_b, .Lfunc_end73-_ZN9rocsparseL18bsrsv_lower_sharedILj128ELj64ELi8ELb0E21rocsparse_complex_numIdEEEviNS_24const_host_device_scalarIT3_EEPKiS7_PKS4_iS9_PS4_PiSB_SB_21rocsparse_index_base_20rocsparse_diag_type_20rocsparse_direction_b
                                        ; -- End function
	.set _ZN9rocsparseL18bsrsv_lower_sharedILj128ELj64ELi8ELb0E21rocsparse_complex_numIdEEEviNS_24const_host_device_scalarIT3_EEPKiS7_PKS4_iS9_PS4_PiSB_SB_21rocsparse_index_base_20rocsparse_diag_type_20rocsparse_direction_b.num_vgpr, 37
	.set _ZN9rocsparseL18bsrsv_lower_sharedILj128ELj64ELi8ELb0E21rocsparse_complex_numIdEEEviNS_24const_host_device_scalarIT3_EEPKiS7_PKS4_iS9_PS4_PiSB_SB_21rocsparse_index_base_20rocsparse_diag_type_20rocsparse_direction_b.num_agpr, 0
	.set _ZN9rocsparseL18bsrsv_lower_sharedILj128ELj64ELi8ELb0E21rocsparse_complex_numIdEEEviNS_24const_host_device_scalarIT3_EEPKiS7_PKS4_iS9_PS4_PiSB_SB_21rocsparse_index_base_20rocsparse_diag_type_20rocsparse_direction_b.numbered_sgpr, 38
	.set _ZN9rocsparseL18bsrsv_lower_sharedILj128ELj64ELi8ELb0E21rocsparse_complex_numIdEEEviNS_24const_host_device_scalarIT3_EEPKiS7_PKS4_iS9_PS4_PiSB_SB_21rocsparse_index_base_20rocsparse_diag_type_20rocsparse_direction_b.num_named_barrier, 0
	.set _ZN9rocsparseL18bsrsv_lower_sharedILj128ELj64ELi8ELb0E21rocsparse_complex_numIdEEEviNS_24const_host_device_scalarIT3_EEPKiS7_PKS4_iS9_PS4_PiSB_SB_21rocsparse_index_base_20rocsparse_diag_type_20rocsparse_direction_b.private_seg_size, 16
	.set _ZN9rocsparseL18bsrsv_lower_sharedILj128ELj64ELi8ELb0E21rocsparse_complex_numIdEEEviNS_24const_host_device_scalarIT3_EEPKiS7_PKS4_iS9_PS4_PiSB_SB_21rocsparse_index_base_20rocsparse_diag_type_20rocsparse_direction_b.uses_vcc, 1
	.set _ZN9rocsparseL18bsrsv_lower_sharedILj128ELj64ELi8ELb0E21rocsparse_complex_numIdEEEviNS_24const_host_device_scalarIT3_EEPKiS7_PKS4_iS9_PS4_PiSB_SB_21rocsparse_index_base_20rocsparse_diag_type_20rocsparse_direction_b.uses_flat_scratch, 1
	.set _ZN9rocsparseL18bsrsv_lower_sharedILj128ELj64ELi8ELb0E21rocsparse_complex_numIdEEEviNS_24const_host_device_scalarIT3_EEPKiS7_PKS4_iS9_PS4_PiSB_SB_21rocsparse_index_base_20rocsparse_diag_type_20rocsparse_direction_b.has_dyn_sized_stack, 0
	.set _ZN9rocsparseL18bsrsv_lower_sharedILj128ELj64ELi8ELb0E21rocsparse_complex_numIdEEEviNS_24const_host_device_scalarIT3_EEPKiS7_PKS4_iS9_PS4_PiSB_SB_21rocsparse_index_base_20rocsparse_diag_type_20rocsparse_direction_b.has_recursion, 0
	.set _ZN9rocsparseL18bsrsv_lower_sharedILj128ELj64ELi8ELb0E21rocsparse_complex_numIdEEEviNS_24const_host_device_scalarIT3_EEPKiS7_PKS4_iS9_PS4_PiSB_SB_21rocsparse_index_base_20rocsparse_diag_type_20rocsparse_direction_b.has_indirect_call, 0
	.section	.AMDGPU.csdata,"",@progbits
; Kernel info:
; codeLenInByte = 2164
; TotalNumSgprs: 44
; NumVgprs: 37
; ScratchSize: 16
; MemoryBound: 1
; FloatMode: 240
; IeeeMode: 1
; LDSByteSize: 2304 bytes/workgroup (compile time only)
; SGPRBlocks: 8
; VGPRBlocks: 9
; NumSGPRsForWavesPerEU: 65
; NumVGPRsForWavesPerEU: 37
; Occupancy: 6
; WaveLimiterHint : 1
; COMPUTE_PGM_RSRC2:SCRATCH_EN: 1
; COMPUTE_PGM_RSRC2:USER_SGPR: 8
; COMPUTE_PGM_RSRC2:TRAP_HANDLER: 0
; COMPUTE_PGM_RSRC2:TGID_X_EN: 1
; COMPUTE_PGM_RSRC2:TGID_Y_EN: 0
; COMPUTE_PGM_RSRC2:TGID_Z_EN: 0
; COMPUTE_PGM_RSRC2:TIDIG_COMP_CNT: 0
	.section	.text._ZN9rocsparseL18bsrsv_upper_sharedILj128ELj64ELi8ELb1E21rocsparse_complex_numIdEEEviNS_24const_host_device_scalarIT3_EEPKiS7_PKS4_iS9_PS4_PiSB_SB_21rocsparse_index_base_20rocsparse_diag_type_20rocsparse_direction_b,"axG",@progbits,_ZN9rocsparseL18bsrsv_upper_sharedILj128ELj64ELi8ELb1E21rocsparse_complex_numIdEEEviNS_24const_host_device_scalarIT3_EEPKiS7_PKS4_iS9_PS4_PiSB_SB_21rocsparse_index_base_20rocsparse_diag_type_20rocsparse_direction_b,comdat
	.globl	_ZN9rocsparseL18bsrsv_upper_sharedILj128ELj64ELi8ELb1E21rocsparse_complex_numIdEEEviNS_24const_host_device_scalarIT3_EEPKiS7_PKS4_iS9_PS4_PiSB_SB_21rocsparse_index_base_20rocsparse_diag_type_20rocsparse_direction_b ; -- Begin function _ZN9rocsparseL18bsrsv_upper_sharedILj128ELj64ELi8ELb1E21rocsparse_complex_numIdEEEviNS_24const_host_device_scalarIT3_EEPKiS7_PKS4_iS9_PS4_PiSB_SB_21rocsparse_index_base_20rocsparse_diag_type_20rocsparse_direction_b
	.p2align	8
	.type	_ZN9rocsparseL18bsrsv_upper_sharedILj128ELj64ELi8ELb1E21rocsparse_complex_numIdEEEviNS_24const_host_device_scalarIT3_EEPKiS7_PKS4_iS9_PS4_PiSB_SB_21rocsparse_index_base_20rocsparse_diag_type_20rocsparse_direction_b,@function
_ZN9rocsparseL18bsrsv_upper_sharedILj128ELj64ELi8ELb1E21rocsparse_complex_numIdEEEviNS_24const_host_device_scalarIT3_EEPKiS7_PKS4_iS9_PS4_PiSB_SB_21rocsparse_index_base_20rocsparse_diag_type_20rocsparse_direction_b: ; @_ZN9rocsparseL18bsrsv_upper_sharedILj128ELj64ELi8ELb1E21rocsparse_complex_numIdEEEviNS_24const_host_device_scalarIT3_EEPKiS7_PKS4_iS9_PS4_PiSB_SB_21rocsparse_index_base_20rocsparse_diag_type_20rocsparse_direction_b
; %bb.0:
	s_add_u32 flat_scratch_lo, s6, s9
	s_load_dwordx4 s[12:15], s[4:5], 0x60
	s_load_dwordx4 s[16:19], s[4:5], 0x8
	s_addc_u32 flat_scratch_hi, s7, 0
	s_add_u32 s0, s0, s9
	s_addc_u32 s1, s1, 0
	s_waitcnt lgkmcnt(0)
	s_bitcmp1_b32 s15, 0
	s_cselect_b64 s[10:11], -1, 0
	s_mov_b64 s[6:7], src_private_base
	v_mov_b32_e32 v1, s17
	s_and_b64 vcc, s[10:11], exec
	buffer_store_dword v1, off, s[0:3], 0 offset:4
	v_mov_b32_e32 v1, s16
	s_cselect_b32 s6, s7, s17
	s_cselect_b32 s7, 0, s16
	buffer_store_dword v1, off, s[0:3], 0
	v_mov_b32_e32 v1, s7
	v_mov_b32_e32 v2, s6
	flat_load_dwordx2 v[1:2], v[1:2]
	v_mov_b32_e32 v7, s18
	v_mov_b32_e32 v8, s19
	s_cbranch_vccnz .LBB74_2
; %bb.1:
	v_mov_b32_e32 v3, s16
	v_mov_b32_e32 v4, s17
	flat_load_dwordx2 v[7:8], v[3:4] offset:8
.LBB74_2:
	s_load_dword s9, s[4:5], 0x0
	s_lshl_b32 s6, s8, 1
	v_lshrrev_b32_e32 v18, 6, v0
	s_and_b32 s6, s6, 0x3fffffe
	v_or_b32_e32 v3, s6, v18
	s_waitcnt lgkmcnt(0)
	v_cmp_gt_i32_e32 vcc, s9, v3
	s_and_saveexec_b64 s[6:7], vcc
	s_cbranch_execz .LBB74_31
; %bb.3:
	s_load_dwordx2 s[6:7], s[4:5], 0x50
	s_load_dwordx4 s[16:19], s[4:5], 0x40
	v_lshlrev_b32_e32 v3, 2, v3
	v_and_b32_e32 v12, 63, v0
	v_mov_b32_e32 v5, 0
	s_waitcnt lgkmcnt(0)
	global_load_dword v9, v3, s[6:7]
	s_load_dwordx2 s[6:7], s[4:5], 0x18
	s_load_dword s33, s[4:5], 0x30
	v_mov_b32_e32 v6, 0
	s_waitcnt lgkmcnt(0)
	v_mov_b32_e32 v4, s7
	v_cmp_gt_i32_e64 s[10:11], s33, v12
	s_waitcnt vmcnt(0)
	v_ashrrev_i32_e32 v10, 31, v9
	v_lshlrev_b64 v[10:11], 2, v[9:10]
	v_add_co_u32_e32 v3, vcc, s6, v10
	v_addc_co_u32_e32 v4, vcc, v4, v11, vcc
	global_load_dwordx2 v[13:14], v[3:4], off
	v_mov_b32_e32 v3, 0
	v_mov_b32_e32 v4, 0
	s_and_saveexec_b64 s[6:7], s[10:11]
	s_cbranch_execz .LBB74_5
; %bb.4:
	s_waitcnt vmcnt(0)
	v_mad_u64_u32 v[3:4], s[20:21], v9, s33, v[12:13]
	s_load_dwordx2 s[20:21], s[4:5], 0x38
	v_ashrrev_i32_e32 v4, 31, v3
	v_lshlrev_b64 v[3:4], 4, v[3:4]
	s_waitcnt lgkmcnt(0)
	v_mov_b32_e32 v5, s21
	v_add_co_u32_e32 v3, vcc, s20, v3
	v_addc_co_u32_e32 v4, vcc, v5, v4, vcc
	global_load_dwordx4 v[3:6], v[3:4], off
.LBB74_5:
	s_or_b64 exec, exec, s[6:7]
	s_waitcnt vmcnt(0)
	v_mul_f64 v[15:16], v[5:6], -v[7:8]
	v_mul_f64 v[5:6], v[1:2], v[5:6]
	s_load_dwordx2 s[24:25], s[4:5], 0x58
	v_subrev_u32_e32 v20, s12, v13
	v_xad_u32 v13, s12, -1, v14
	v_cmp_ge_i32_e32 vcc, v13, v20
	v_lshlrev_b32_e32 v19, 4, v12
	v_fma_f64 v[1:2], v[1:2], v[3:4], v[15:16]
	v_fma_f64 v[3:4], v[7:8], v[3:4], v[5:6]
	v_mov_b32_e32 v16, s9
	s_and_saveexec_b64 s[26:27], vcc
	s_cbranch_execz .LBB74_28
; %bb.6:
	s_load_dwordx4 s[20:23], s[4:5], 0x20
	v_and_b32_e32 v5, 64, v0
	v_lshlrev_b32_e32 v5, 4, v5
	v_mov_b32_e32 v6, 0x800
	v_and_b32_e32 v0, 7, v0
	v_lshrrev_b32_e32 v15, 3, v12
	v_lshl_or_b32 v21, v18, 7, v6
	v_lshl_or_b32 v6, v0, 4, v5
	v_or_b32_e32 v23, v5, v19
	v_max_i32_e32 v5, v0, v15
	s_cmp_lg_u32 s14, 0
	v_cmp_gt_i32_e64 s[8:9], s33, v5
	v_lshlrev_b32_e32 v5, 7, v15
	s_cselect_b64 s[14:15], -1, 0
	v_cmp_gt_u32_e64 s[6:7], 8, v12
	v_add_u32_e32 v22, v21, v19
	s_mov_b64 s[28:29], 0
	s_waitcnt lgkmcnt(0)
	v_mov_b32_e32 v24, s21
	v_add_u32_e32 v25, v6, v5
	s_branch .LBB74_9
.LBB74_7:                               ;   in Loop: Header=BB74_9 Depth=1
	s_or_b64 exec, exec, s[4:5]
.LBB74_8:                               ;   in Loop: Header=BB74_9 Depth=1
	s_or_b64 exec, exec, s[30:31]
	v_cmp_le_i32_e64 s[4:5], v13, v20
	s_xor_b64 s[30:31], vcc, -1
	s_or_b64 s[4:5], s[30:31], s[4:5]
	v_add_u32_e32 v5, -1, v13
	s_and_b64 s[4:5], exec, s[4:5]
	s_or_b64 s[28:29], s[4:5], s[28:29]
	v_mov_b32_e32 v13, v5
	s_andn2_b64 exec, exec, s[28:29]
	s_cbranch_execz .LBB74_27
.LBB74_9:                               ; =>This Loop Header: Depth=1
                                        ;     Child Loop BB74_18 Depth 2
                                        ;       Child Loop BB74_19 Depth 3
	v_ashrrev_i32_e32 v14, 31, v13
	v_lshlrev_b64 v[5:6], 2, v[13:14]
	v_mov_b32_e32 v7, 0
	v_add_co_u32_e32 v5, vcc, s20, v5
	v_addc_co_u32_e32 v6, vcc, v24, v6, vcc
	global_load_dword v14, v[5:6], off
	v_mov_b32_e32 v5, 0
	v_mov_b32_e32 v6, 0
	;; [unrolled: 1-line block ×3, first 2 shown]
	s_and_saveexec_b64 s[4:5], s[8:9]
	s_cbranch_execz .LBB74_14
; %bb.10:                               ;   in Loop: Header=BB74_9 Depth=1
	v_mul_lo_u32 v7, v13, s33
	s_and_b64 vcc, exec, s[14:15]
	s_cbranch_vccz .LBB74_26
; %bb.11:                               ;   in Loop: Header=BB74_9 Depth=1
	v_add_u32_e32 v5, v7, v15
	v_mad_u64_u32 v[5:6], s[30:31], v5, s33, v[0:1]
	s_cbranch_execnz .LBB74_13
.LBB74_12:                              ;   in Loop: Header=BB74_9 Depth=1
	v_add_u32_e32 v5, v7, v0
	v_mad_u64_u32 v[5:6], s[30:31], v5, s33, v[15:16]
.LBB74_13:                              ;   in Loop: Header=BB74_9 Depth=1
	v_ashrrev_i32_e32 v6, 31, v5
	v_lshlrev_b64 v[5:6], 4, v[5:6]
	v_mov_b32_e32 v7, s23
	v_add_co_u32_e32 v5, vcc, s22, v5
	v_addc_co_u32_e32 v6, vcc, v7, v6, vcc
	global_load_dwordx4 v[5:8], v[5:6], off
.LBB74_14:                              ;   in Loop: Header=BB74_9 Depth=1
	s_or_b64 exec, exec, s[4:5]
	s_waitcnt vmcnt(0)
	v_subrev_u32_e32 v16, s12, v14
	v_cmp_gt_i32_e32 vcc, v16, v9
	ds_write_b128 v25, v[5:8]
	s_and_saveexec_b64 s[30:31], vcc
	s_cbranch_execz .LBB74_8
; %bb.15:                               ;   in Loop: Header=BB74_9 Depth=1
	v_ashrrev_i32_e32 v17, 31, v16
	v_lshlrev_b64 v[5:6], 2, v[16:17]
	v_mov_b32_e32 v7, s19
	v_add_co_u32_e64 v5, s[4:5], s18, v5
	v_addc_co_u32_e64 v6, s[4:5], v7, v6, s[4:5]
	global_load_dword v7, v[5:6], off glc
	s_waitcnt vmcnt(0)
	v_cmp_eq_u32_e64 s[4:5], 0, v7
	s_and_saveexec_b64 s[34:35], s[4:5]
	s_cbranch_execz .LBB74_20
; %bb.16:                               ;   in Loop: Header=BB74_9 Depth=1
	s_mov_b32 s21, 0
	s_mov_b64 s[36:37], 0
	s_branch .LBB74_18
.LBB74_17:                              ;   in Loop: Header=BB74_18 Depth=2
	global_load_dword v7, v[5:6], off glc
	s_cmpk_lt_u32 s21, 0xf43
	s_cselect_b64 s[4:5], -1, 0
	s_cmp_lg_u64 s[4:5], 0
	s_addc_u32 s21, s21, 0
	s_waitcnt vmcnt(0)
	v_cmp_ne_u32_e64 s[4:5], 0, v7
	s_or_b64 s[36:37], s[4:5], s[36:37]
	s_andn2_b64 exec, exec, s[36:37]
	s_cbranch_execz .LBB74_20
.LBB74_18:                              ;   Parent Loop BB74_9 Depth=1
                                        ; =>  This Loop Header: Depth=2
                                        ;       Child Loop BB74_19 Depth 3
	s_cmp_eq_u32 s21, 0
	s_mov_b32 s4, s21
	s_cbranch_scc1 .LBB74_17
.LBB74_19:                              ;   Parent Loop BB74_9 Depth=1
                                        ;     Parent Loop BB74_18 Depth=2
                                        ; =>    This Inner Loop Header: Depth=3
	s_add_i32 s4, s4, -1
	s_cmp_eq_u32 s4, 0
	s_sleep 1
	s_cbranch_scc0 .LBB74_19
	s_branch .LBB74_17
.LBB74_20:                              ;   in Loop: Header=BB74_9 Depth=1
	s_or_b64 exec, exec, s[34:35]
	s_waitcnt lgkmcnt(0)
	buffer_wbinvl1_vol
	s_and_saveexec_b64 s[34:35], s[6:7]
	s_cbranch_execz .LBB74_24
; %bb.21:                               ;   in Loop: Header=BB74_9 Depth=1
	v_mov_b32_e32 v7, 0
	v_mov_b32_e32 v5, 0
	;; [unrolled: 1-line block ×4, first 2 shown]
	s_and_saveexec_b64 s[36:37], s[10:11]
	s_cbranch_execz .LBB74_23
; %bb.22:                               ;   in Loop: Header=BB74_9 Depth=1
	v_mad_u64_u32 v[5:6], s[4:5], v16, s33, v[12:13]
	v_mov_b32_e32 v7, s17
	v_ashrrev_i32_e32 v6, 31, v5
	v_lshlrev_b64 v[5:6], 4, v[5:6]
	v_add_co_u32_e64 v5, s[4:5], s16, v5
	v_addc_co_u32_e64 v6, s[4:5], v7, v6, s[4:5]
	global_load_dwordx4 v[5:8], v[5:6], off
.LBB74_23:                              ;   in Loop: Header=BB74_9 Depth=1
	s_or_b64 exec, exec, s[36:37]
	s_waitcnt vmcnt(0)
	ds_write_b128 v22, v[5:8]
.LBB74_24:                              ;   in Loop: Header=BB74_9 Depth=1
	s_or_b64 exec, exec, s[34:35]
	s_waitcnt lgkmcnt(0)
	s_and_saveexec_b64 s[4:5], s[10:11]
	s_cbranch_execz .LBB74_7
; %bb.25:                               ;   in Loop: Header=BB74_9 Depth=1
	ds_read_b128 v[5:8], v23
	ds_read_b128 v[26:29], v21
	ds_read_b128 v[30:33], v21 offset:16
	ds_read_b128 v[34:37], v23 offset:128
	s_waitcnt lgkmcnt(2)
	v_fma_f64 v[1:2], -v[5:6], v[26:27], v[1:2]
	v_fma_f64 v[3:4], -v[7:8], v[26:27], v[3:4]
	v_fma_f64 v[1:2], v[7:8], v[28:29], v[1:2]
	v_fma_f64 v[3:4], -v[5:6], v[28:29], v[3:4]
	s_waitcnt lgkmcnt(0)
	v_fma_f64 v[1:2], -v[34:35], v[30:31], v[1:2]
	v_fma_f64 v[3:4], -v[36:37], v[30:31], v[3:4]
	v_fma_f64 v[36:37], v[36:37], v[32:33], v[1:2]
	v_fma_f64 v[34:35], -v[34:35], v[32:33], v[3:4]
	ds_read_b128 v[1:4], v23 offset:256
	ds_read_b128 v[5:8], v21 offset:32
	ds_read_b128 v[26:29], v21 offset:48
	ds_read_b128 v[30:33], v23 offset:384
	s_waitcnt lgkmcnt(2)
	v_fma_f64 v[36:37], -v[1:2], v[5:6], v[36:37]
	v_fma_f64 v[5:6], -v[3:4], v[5:6], v[34:35]
	v_fma_f64 v[3:4], v[3:4], v[7:8], v[36:37]
	v_fma_f64 v[1:2], -v[1:2], v[7:8], v[5:6]
	s_waitcnt lgkmcnt(0)
	v_fma_f64 v[3:4], -v[30:31], v[26:27], v[3:4]
	v_fma_f64 v[1:2], -v[32:33], v[26:27], v[1:2]
	v_fma_f64 v[34:35], v[32:33], v[28:29], v[3:4]
	v_fma_f64 v[36:37], -v[30:31], v[28:29], v[1:2]
	ds_read_b128 v[1:4], v21 offset:64
	ds_read_b128 v[5:8], v23 offset:512
	;; [unrolled: 14-line block ×3, first 2 shown]
	ds_read_b128 v[26:29], v23 offset:896
	ds_read_b128 v[30:33], v21 offset:112
	s_waitcnt lgkmcnt(2)
	v_fma_f64 v[34:35], -v[5:6], v[1:2], v[34:35]
	v_fma_f64 v[1:2], -v[7:8], v[1:2], v[36:37]
	v_fma_f64 v[7:8], v[7:8], v[3:4], v[34:35]
	v_fma_f64 v[1:2], -v[5:6], v[3:4], v[1:2]
	s_waitcnt lgkmcnt(0)
	v_fma_f64 v[3:4], -v[26:27], v[30:31], v[7:8]
	v_fma_f64 v[5:6], -v[28:29], v[30:31], v[1:2]
	v_fma_f64 v[1:2], v[28:29], v[32:33], v[3:4]
	v_fma_f64 v[3:4], -v[26:27], v[32:33], v[5:6]
	s_branch .LBB74_7
.LBB74_26:                              ;   in Loop: Header=BB74_9 Depth=1
                                        ; implicit-def: $vgpr5
	s_branch .LBB74_12
.LBB74_27:
	s_or_b64 exec, exec, s[28:29]
.LBB74_28:
	s_or_b64 exec, exec, s[26:27]
	s_cmp_gt_i32 s33, 0
	v_cmp_eq_u32_e32 vcc, v16, v9
	s_cselect_b64 s[4:5], -1, 0
	s_and_b64 s[6:7], s[4:5], vcc
	s_mov_b64 s[4:5], 0
	s_and_saveexec_b64 s[8:9], s[6:7]
	s_cbranch_execnz .LBB74_32
; %bb.29:
	s_or_b64 exec, exec, s[8:9]
	s_and_saveexec_b64 s[6:7], s[10:11]
	s_cbranch_execnz .LBB74_46
.LBB74_30:
	s_or_b64 exec, exec, s[6:7]
	v_cmp_eq_u32_e32 vcc, 0, v12
	s_and_b64 exec, exec, vcc
	s_cbranch_execnz .LBB74_47
.LBB74_31:
	s_endpgm
.LBB74_32:
	v_lshlrev_b32_e32 v5, 10, v18
	v_lshl_add_u32 v6, s33, 7, v5
	s_movk_i32 s6, 0xff80
	s_cmp_eq_u32 s13, 0
	v_add3_u32 v17, v6, v19, s6
	s_mul_i32 s6, s33, 0x90
	s_cselect_b64 s[4:5], -1, 0
	v_mbcnt_lo_u32_b32 v0, -1, 0
	v_add_u32_e32 v5, s6, v5
	v_mbcnt_hi_u32_b32 v0, -1, v0
	v_add_u32_e32 v18, 0xffffff70, v5
	v_cndmask_b32_e64 v5, 0, 1, s[4:5]
	v_and_b32_e32 v0, 64, v0
	s_add_i32 s13, s33, -1
	s_mov_b64 s[20:21], 0
	v_cmp_ne_u32_e64 s[6:7], 1, v5
                                        ; implicit-def: $sgpr14_sgpr15
	s_and_b64 vcc, exec, s[6:7]
	s_cbranch_vccz .LBB74_34
.LBB74_33:
	v_mov_b32_e32 v5, 0
	v_mov_b32_e32 v7, 0
	;; [unrolled: 1-line block ×4, first 2 shown]
	s_branch .LBB74_35
.LBB74_34:
	ds_read_b128 v[5:8], v18
.LBB74_35:
	s_waitcnt lgkmcnt(0)
	v_cmp_neq_f64_e32 vcc, 0, v[5:6]
	v_cmp_neq_f64_e64 s[4:5], 0, v[7:8]
	v_and_or_b32 v13, s13, 63, v0
	v_lshlrev_b32_e32 v14, 2, v13
	ds_bpermute_b32 v15, v14, v1
	ds_bpermute_b32 v16, v14, v2
	;; [unrolled: 1-line block ×4, first 2 shown]
	s_or_b64 s[14:15], s[14:15], exec
	s_or_b64 s[22:23], vcc, s[4:5]
	s_and_saveexec_b64 s[4:5], s[22:23]
	s_cbranch_execz .LBB74_37
; %bb.36:
	v_mul_f64 v[19:20], v[7:8], v[7:8]
	s_andn2_b64 s[14:15], s[14:15], exec
	s_and_b64 s[20:21], s[20:21], exec
	s_or_b64 s[14:15], s[14:15], s[20:21]
	v_fma_f64 v[19:20], v[5:6], v[5:6], v[19:20]
	v_div_scale_f64 v[21:22], s[22:23], v[19:20], v[19:20], 1.0
	v_rcp_f64_e32 v[23:24], v[21:22]
	v_fma_f64 v[25:26], -v[21:22], v[23:24], 1.0
	v_fma_f64 v[23:24], v[23:24], v[25:26], v[23:24]
	v_div_scale_f64 v[25:26], vcc, 1.0, v[19:20], 1.0
	v_fma_f64 v[27:28], -v[21:22], v[23:24], 1.0
	v_fma_f64 v[23:24], v[23:24], v[27:28], v[23:24]
	v_mul_f64 v[27:28], v[25:26], v[23:24]
	v_fma_f64 v[21:22], -v[21:22], v[27:28], v[25:26]
	v_div_fmas_f64 v[21:22], v[21:22], v[23:24], v[27:28]
	s_waitcnt lgkmcnt(0)
	v_mul_f64 v[23:24], v[7:8], v[13:14]
	v_mul_f64 v[7:8], v[7:8], -v[15:16]
	v_fma_f64 v[15:16], v[15:16], v[5:6], v[23:24]
	v_fma_f64 v[5:6], v[13:14], v[5:6], v[7:8]
	v_div_fixup_f64 v[19:20], v[21:22], v[19:20], 1.0
	v_mul_f64 v[15:16], v[19:20], v[15:16]
	v_mul_f64 v[13:14], v[19:20], v[5:6]
.LBB74_37:
	s_or_b64 exec, exec, s[4:5]
	s_and_saveexec_b64 s[4:5], s[10:11]
	s_cbranch_execz .LBB74_43
; %bb.38:
	v_cmp_le_i32_e32 vcc, s13, v12
	s_and_saveexec_b64 s[20:21], vcc
	s_xor_b64 s[20:21], exec, s[20:21]
	s_cbranch_execz .LBB74_40
; %bb.39:
	v_cmp_eq_u32_e32 vcc, s13, v12
	s_waitcnt lgkmcnt(2)
	v_cndmask_b32_e32 v2, v2, v16, vcc
	v_cndmask_b32_e32 v1, v1, v15, vcc
	s_waitcnt lgkmcnt(0)
	v_cndmask_b32_e32 v4, v4, v14, vcc
	v_cndmask_b32_e32 v3, v3, v13, vcc
                                        ; implicit-def: $vgpr15_vgpr16
                                        ; implicit-def: $vgpr13_vgpr14
.LBB74_40:
	s_andn2_saveexec_b64 s[20:21], s[20:21]
	s_cbranch_execz .LBB74_42
; %bb.41:
	ds_read_b128 v[5:8], v17
	s_waitcnt lgkmcnt(0)
	v_fma_f64 v[1:2], -v[15:16], v[5:6], v[1:2]
	v_fma_f64 v[3:4], -v[13:14], v[5:6], v[3:4]
	v_fma_f64 v[1:2], v[13:14], v[7:8], v[1:2]
	v_fma_f64 v[3:4], -v[15:16], v[7:8], v[3:4]
.LBB74_42:
	s_or_b64 exec, exec, s[20:21]
.LBB74_43:
	s_or_b64 exec, exec, s[4:5]
	s_add_i32 s4, s13, -1
	s_add_i32 s5, s13, 1
	v_add_u32_e32 v17, 0xffffff80, v17
	s_cmp_gt_u32 s5, 1
	v_add_u32_e32 v18, 0xffffff70, v18
	s_cbranch_scc0 .LBB74_45
; %bb.44:
	s_mov_b64 s[20:21], s[14:15]
	s_mov_b32 s13, s4
	s_and_b64 vcc, exec, s[6:7]
	s_cbranch_vccnz .LBB74_33
	s_branch .LBB74_34
.LBB74_45:
	s_and_b64 s[4:5], s[14:15], exec
	s_or_b64 exec, exec, s[8:9]
	s_and_saveexec_b64 s[6:7], s[10:11]
	s_cbranch_execz .LBB74_30
.LBB74_46:
	s_waitcnt lgkmcnt(0)
	v_mad_u64_u32 v[5:6], s[8:9], v9, s33, v[12:13]
	v_mov_b32_e32 v0, s17
	v_ashrrev_i32_e32 v6, 31, v5
	v_lshlrev_b64 v[5:6], 4, v[5:6]
	v_add_co_u32_e32 v5, vcc, s16, v5
	v_addc_co_u32_e32 v6, vcc, v0, v6, vcc
	global_store_dwordx4 v[5:6], v[1:4], off
	s_or_b64 exec, exec, s[6:7]
	v_cmp_eq_u32_e32 vcc, 0, v12
	s_and_b64 exec, exec, vcc
	s_cbranch_execz .LBB74_31
.LBB74_47:
	v_mov_b32_e32 v1, s19
	v_add_co_u32_e32 v0, vcc, s18, v10
	v_addc_co_u32_e32 v1, vcc, v1, v11, vcc
	v_mov_b32_e32 v2, 1
	s_waitcnt vmcnt(0) lgkmcnt(0)
	global_store_dword v[0:1], v2, off
	s_and_b64 exec, exec, s[4:5]
	s_cbranch_execz .LBB74_31
; %bb.48:
	s_mov_b64 s[4:5], exec
	v_add_u32_e32 v0, s12, v9
	s_brev_b32 s6, -2
.LBB74_49:                              ; =>This Inner Loop Header: Depth=1
	s_ff1_i32_b64 s7, s[4:5]
	v_readlane_b32 s10, v0, s7
	s_lshl_b64 s[8:9], 1, s7
	s_min_i32 s6, s6, s10
	s_andn2_b64 s[4:5], s[4:5], s[8:9]
	s_cmp_lg_u64 s[4:5], 0
	s_cbranch_scc1 .LBB74_49
; %bb.50:
	v_mbcnt_lo_u32_b32 v0, exec_lo, 0
	v_mbcnt_hi_u32_b32 v0, exec_hi, v0
	v_cmp_eq_u32_e32 vcc, 0, v0
	s_and_saveexec_b64 s[4:5], vcc
	s_xor_b64 s[4:5], exec, s[4:5]
	s_cbranch_execz .LBB74_31
; %bb.51:
	v_mov_b32_e32 v0, 0
	v_mov_b32_e32 v1, s6
	global_atomic_smin v0, v1, s[24:25]
	s_endpgm
	.section	.rodata,"a",@progbits
	.p2align	6, 0x0
	.amdhsa_kernel _ZN9rocsparseL18bsrsv_upper_sharedILj128ELj64ELi8ELb1E21rocsparse_complex_numIdEEEviNS_24const_host_device_scalarIT3_EEPKiS7_PKS4_iS9_PS4_PiSB_SB_21rocsparse_index_base_20rocsparse_diag_type_20rocsparse_direction_b
		.amdhsa_group_segment_fixed_size 2304
		.amdhsa_private_segment_fixed_size 16
		.amdhsa_kernarg_size 112
		.amdhsa_user_sgpr_count 8
		.amdhsa_user_sgpr_private_segment_buffer 1
		.amdhsa_user_sgpr_dispatch_ptr 0
		.amdhsa_user_sgpr_queue_ptr 0
		.amdhsa_user_sgpr_kernarg_segment_ptr 1
		.amdhsa_user_sgpr_dispatch_id 0
		.amdhsa_user_sgpr_flat_scratch_init 1
		.amdhsa_user_sgpr_private_segment_size 0
		.amdhsa_uses_dynamic_stack 0
		.amdhsa_system_sgpr_private_segment_wavefront_offset 1
		.amdhsa_system_sgpr_workgroup_id_x 1
		.amdhsa_system_sgpr_workgroup_id_y 0
		.amdhsa_system_sgpr_workgroup_id_z 0
		.amdhsa_system_sgpr_workgroup_info 0
		.amdhsa_system_vgpr_workitem_id 0
		.amdhsa_next_free_vgpr 38
		.amdhsa_next_free_sgpr 59
		.amdhsa_reserve_vcc 1
		.amdhsa_reserve_flat_scratch 1
		.amdhsa_float_round_mode_32 0
		.amdhsa_float_round_mode_16_64 0
		.amdhsa_float_denorm_mode_32 3
		.amdhsa_float_denorm_mode_16_64 3
		.amdhsa_dx10_clamp 1
		.amdhsa_ieee_mode 1
		.amdhsa_fp16_overflow 0
		.amdhsa_exception_fp_ieee_invalid_op 0
		.amdhsa_exception_fp_denorm_src 0
		.amdhsa_exception_fp_ieee_div_zero 0
		.amdhsa_exception_fp_ieee_overflow 0
		.amdhsa_exception_fp_ieee_underflow 0
		.amdhsa_exception_fp_ieee_inexact 0
		.amdhsa_exception_int_div_zero 0
	.end_amdhsa_kernel
	.section	.text._ZN9rocsparseL18bsrsv_upper_sharedILj128ELj64ELi8ELb1E21rocsparse_complex_numIdEEEviNS_24const_host_device_scalarIT3_EEPKiS7_PKS4_iS9_PS4_PiSB_SB_21rocsparse_index_base_20rocsparse_diag_type_20rocsparse_direction_b,"axG",@progbits,_ZN9rocsparseL18bsrsv_upper_sharedILj128ELj64ELi8ELb1E21rocsparse_complex_numIdEEEviNS_24const_host_device_scalarIT3_EEPKiS7_PKS4_iS9_PS4_PiSB_SB_21rocsparse_index_base_20rocsparse_diag_type_20rocsparse_direction_b,comdat
.Lfunc_end74:
	.size	_ZN9rocsparseL18bsrsv_upper_sharedILj128ELj64ELi8ELb1E21rocsparse_complex_numIdEEEviNS_24const_host_device_scalarIT3_EEPKiS7_PKS4_iS9_PS4_PiSB_SB_21rocsparse_index_base_20rocsparse_diag_type_20rocsparse_direction_b, .Lfunc_end74-_ZN9rocsparseL18bsrsv_upper_sharedILj128ELj64ELi8ELb1E21rocsparse_complex_numIdEEEviNS_24const_host_device_scalarIT3_EEPKiS7_PKS4_iS9_PS4_PiSB_SB_21rocsparse_index_base_20rocsparse_diag_type_20rocsparse_direction_b
                                        ; -- End function
	.set _ZN9rocsparseL18bsrsv_upper_sharedILj128ELj64ELi8ELb1E21rocsparse_complex_numIdEEEviNS_24const_host_device_scalarIT3_EEPKiS7_PKS4_iS9_PS4_PiSB_SB_21rocsparse_index_base_20rocsparse_diag_type_20rocsparse_direction_b.num_vgpr, 38
	.set _ZN9rocsparseL18bsrsv_upper_sharedILj128ELj64ELi8ELb1E21rocsparse_complex_numIdEEEviNS_24const_host_device_scalarIT3_EEPKiS7_PKS4_iS9_PS4_PiSB_SB_21rocsparse_index_base_20rocsparse_diag_type_20rocsparse_direction_b.num_agpr, 0
	.set _ZN9rocsparseL18bsrsv_upper_sharedILj128ELj64ELi8ELb1E21rocsparse_complex_numIdEEEviNS_24const_host_device_scalarIT3_EEPKiS7_PKS4_iS9_PS4_PiSB_SB_21rocsparse_index_base_20rocsparse_diag_type_20rocsparse_direction_b.numbered_sgpr, 38
	.set _ZN9rocsparseL18bsrsv_upper_sharedILj128ELj64ELi8ELb1E21rocsparse_complex_numIdEEEviNS_24const_host_device_scalarIT3_EEPKiS7_PKS4_iS9_PS4_PiSB_SB_21rocsparse_index_base_20rocsparse_diag_type_20rocsparse_direction_b.num_named_barrier, 0
	.set _ZN9rocsparseL18bsrsv_upper_sharedILj128ELj64ELi8ELb1E21rocsparse_complex_numIdEEEviNS_24const_host_device_scalarIT3_EEPKiS7_PKS4_iS9_PS4_PiSB_SB_21rocsparse_index_base_20rocsparse_diag_type_20rocsparse_direction_b.private_seg_size, 16
	.set _ZN9rocsparseL18bsrsv_upper_sharedILj128ELj64ELi8ELb1E21rocsparse_complex_numIdEEEviNS_24const_host_device_scalarIT3_EEPKiS7_PKS4_iS9_PS4_PiSB_SB_21rocsparse_index_base_20rocsparse_diag_type_20rocsparse_direction_b.uses_vcc, 1
	.set _ZN9rocsparseL18bsrsv_upper_sharedILj128ELj64ELi8ELb1E21rocsparse_complex_numIdEEEviNS_24const_host_device_scalarIT3_EEPKiS7_PKS4_iS9_PS4_PiSB_SB_21rocsparse_index_base_20rocsparse_diag_type_20rocsparse_direction_b.uses_flat_scratch, 1
	.set _ZN9rocsparseL18bsrsv_upper_sharedILj128ELj64ELi8ELb1E21rocsparse_complex_numIdEEEviNS_24const_host_device_scalarIT3_EEPKiS7_PKS4_iS9_PS4_PiSB_SB_21rocsparse_index_base_20rocsparse_diag_type_20rocsparse_direction_b.has_dyn_sized_stack, 0
	.set _ZN9rocsparseL18bsrsv_upper_sharedILj128ELj64ELi8ELb1E21rocsparse_complex_numIdEEEviNS_24const_host_device_scalarIT3_EEPKiS7_PKS4_iS9_PS4_PiSB_SB_21rocsparse_index_base_20rocsparse_diag_type_20rocsparse_direction_b.has_recursion, 0
	.set _ZN9rocsparseL18bsrsv_upper_sharedILj128ELj64ELi8ELb1E21rocsparse_complex_numIdEEEviNS_24const_host_device_scalarIT3_EEPKiS7_PKS4_iS9_PS4_PiSB_SB_21rocsparse_index_base_20rocsparse_diag_type_20rocsparse_direction_b.has_indirect_call, 0
	.section	.AMDGPU.csdata,"",@progbits
; Kernel info:
; codeLenInByte = 2272
; TotalNumSgprs: 44
; NumVgprs: 38
; ScratchSize: 16
; MemoryBound: 1
; FloatMode: 240
; IeeeMode: 1
; LDSByteSize: 2304 bytes/workgroup (compile time only)
; SGPRBlocks: 8
; VGPRBlocks: 9
; NumSGPRsForWavesPerEU: 65
; NumVGPRsForWavesPerEU: 38
; Occupancy: 6
; WaveLimiterHint : 1
; COMPUTE_PGM_RSRC2:SCRATCH_EN: 1
; COMPUTE_PGM_RSRC2:USER_SGPR: 8
; COMPUTE_PGM_RSRC2:TRAP_HANDLER: 0
; COMPUTE_PGM_RSRC2:TGID_X_EN: 1
; COMPUTE_PGM_RSRC2:TGID_Y_EN: 0
; COMPUTE_PGM_RSRC2:TGID_Z_EN: 0
; COMPUTE_PGM_RSRC2:TIDIG_COMP_CNT: 0
	.section	.text._ZN9rocsparseL18bsrsv_upper_sharedILj128ELj64ELi8ELb0E21rocsparse_complex_numIdEEEviNS_24const_host_device_scalarIT3_EEPKiS7_PKS4_iS9_PS4_PiSB_SB_21rocsparse_index_base_20rocsparse_diag_type_20rocsparse_direction_b,"axG",@progbits,_ZN9rocsparseL18bsrsv_upper_sharedILj128ELj64ELi8ELb0E21rocsparse_complex_numIdEEEviNS_24const_host_device_scalarIT3_EEPKiS7_PKS4_iS9_PS4_PiSB_SB_21rocsparse_index_base_20rocsparse_diag_type_20rocsparse_direction_b,comdat
	.globl	_ZN9rocsparseL18bsrsv_upper_sharedILj128ELj64ELi8ELb0E21rocsparse_complex_numIdEEEviNS_24const_host_device_scalarIT3_EEPKiS7_PKS4_iS9_PS4_PiSB_SB_21rocsparse_index_base_20rocsparse_diag_type_20rocsparse_direction_b ; -- Begin function _ZN9rocsparseL18bsrsv_upper_sharedILj128ELj64ELi8ELb0E21rocsparse_complex_numIdEEEviNS_24const_host_device_scalarIT3_EEPKiS7_PKS4_iS9_PS4_PiSB_SB_21rocsparse_index_base_20rocsparse_diag_type_20rocsparse_direction_b
	.p2align	8
	.type	_ZN9rocsparseL18bsrsv_upper_sharedILj128ELj64ELi8ELb0E21rocsparse_complex_numIdEEEviNS_24const_host_device_scalarIT3_EEPKiS7_PKS4_iS9_PS4_PiSB_SB_21rocsparse_index_base_20rocsparse_diag_type_20rocsparse_direction_b,@function
_ZN9rocsparseL18bsrsv_upper_sharedILj128ELj64ELi8ELb0E21rocsparse_complex_numIdEEEviNS_24const_host_device_scalarIT3_EEPKiS7_PKS4_iS9_PS4_PiSB_SB_21rocsparse_index_base_20rocsparse_diag_type_20rocsparse_direction_b: ; @_ZN9rocsparseL18bsrsv_upper_sharedILj128ELj64ELi8ELb0E21rocsparse_complex_numIdEEEviNS_24const_host_device_scalarIT3_EEPKiS7_PKS4_iS9_PS4_PiSB_SB_21rocsparse_index_base_20rocsparse_diag_type_20rocsparse_direction_b
; %bb.0:
	s_add_u32 flat_scratch_lo, s6, s9
	s_load_dwordx4 s[12:15], s[4:5], 0x60
	s_load_dwordx4 s[16:19], s[4:5], 0x8
	s_addc_u32 flat_scratch_hi, s7, 0
	s_add_u32 s0, s0, s9
	s_addc_u32 s1, s1, 0
	s_waitcnt lgkmcnt(0)
	s_bitcmp1_b32 s15, 0
	s_cselect_b64 s[10:11], -1, 0
	s_mov_b64 s[6:7], src_private_base
	v_mov_b32_e32 v1, s17
	s_and_b64 vcc, s[10:11], exec
	buffer_store_dword v1, off, s[0:3], 0 offset:4
	v_mov_b32_e32 v1, s16
	s_cselect_b32 s6, s7, s17
	s_cselect_b32 s7, 0, s16
	buffer_store_dword v1, off, s[0:3], 0
	v_mov_b32_e32 v1, s7
	v_mov_b32_e32 v2, s6
	flat_load_dwordx2 v[1:2], v[1:2]
	v_mov_b32_e32 v7, s18
	v_mov_b32_e32 v8, s19
	s_cbranch_vccnz .LBB75_2
; %bb.1:
	v_mov_b32_e32 v3, s16
	v_mov_b32_e32 v4, s17
	flat_load_dwordx2 v[7:8], v[3:4] offset:8
.LBB75_2:
	s_load_dword s9, s[4:5], 0x0
	s_lshl_b32 s6, s8, 1
	v_lshrrev_b32_e32 v18, 6, v0
	s_and_b32 s6, s6, 0x3fffffe
	v_or_b32_e32 v3, s6, v18
	s_waitcnt lgkmcnt(0)
	v_cmp_gt_i32_e32 vcc, s9, v3
	s_and_saveexec_b64 s[6:7], vcc
	s_cbranch_execz .LBB75_29
; %bb.3:
	s_load_dwordx2 s[6:7], s[4:5], 0x50
	s_load_dwordx4 s[16:19], s[4:5], 0x40
	v_lshlrev_b32_e32 v3, 2, v3
	v_and_b32_e32 v12, 63, v0
	v_mov_b32_e32 v5, 0
	s_waitcnt lgkmcnt(0)
	global_load_dword v9, v3, s[6:7]
	s_load_dwordx2 s[6:7], s[4:5], 0x18
	s_load_dword s33, s[4:5], 0x30
	v_mov_b32_e32 v6, 0
	s_waitcnt lgkmcnt(0)
	v_mov_b32_e32 v4, s7
	v_cmp_gt_i32_e64 s[10:11], s33, v12
	s_waitcnt vmcnt(0)
	v_ashrrev_i32_e32 v10, 31, v9
	v_lshlrev_b64 v[10:11], 2, v[9:10]
	v_add_co_u32_e32 v3, vcc, s6, v10
	v_addc_co_u32_e32 v4, vcc, v4, v11, vcc
	global_load_dwordx2 v[13:14], v[3:4], off
	v_mov_b32_e32 v3, 0
	v_mov_b32_e32 v4, 0
	s_and_saveexec_b64 s[6:7], s[10:11]
	s_cbranch_execz .LBB75_5
; %bb.4:
	s_waitcnt vmcnt(0)
	v_mad_u64_u32 v[3:4], s[20:21], v9, s33, v[12:13]
	s_load_dwordx2 s[20:21], s[4:5], 0x38
	v_ashrrev_i32_e32 v4, 31, v3
	v_lshlrev_b64 v[3:4], 4, v[3:4]
	s_waitcnt lgkmcnt(0)
	v_mov_b32_e32 v5, s21
	v_add_co_u32_e32 v3, vcc, s20, v3
	v_addc_co_u32_e32 v4, vcc, v5, v4, vcc
	global_load_dwordx4 v[3:6], v[3:4], off
.LBB75_5:
	s_or_b64 exec, exec, s[6:7]
	s_waitcnt vmcnt(0)
	v_mul_f64 v[15:16], v[5:6], -v[7:8]
	v_mul_f64 v[5:6], v[1:2], v[5:6]
	s_load_dwordx2 s[24:25], s[4:5], 0x58
	v_subrev_u32_e32 v20, s12, v13
	v_xad_u32 v13, s12, -1, v14
	v_cmp_ge_i32_e32 vcc, v13, v20
	v_lshlrev_b32_e32 v19, 4, v12
	v_fma_f64 v[1:2], v[1:2], v[3:4], v[15:16]
	v_fma_f64 v[3:4], v[7:8], v[3:4], v[5:6]
	v_mov_b32_e32 v16, s9
	s_and_saveexec_b64 s[26:27], vcc
	s_cbranch_execz .LBB75_26
; %bb.6:
	s_load_dwordx4 s[20:23], s[4:5], 0x20
	v_and_b32_e32 v5, 64, v0
	v_lshlrev_b32_e32 v5, 4, v5
	v_mov_b32_e32 v6, 0x800
	v_and_b32_e32 v0, 7, v0
	v_lshrrev_b32_e32 v15, 3, v12
	v_lshl_or_b32 v21, v18, 7, v6
	v_lshl_or_b32 v6, v0, 4, v5
	v_or_b32_e32 v23, v5, v19
	v_max_i32_e32 v5, v0, v15
	s_cmp_lg_u32 s14, 0
	v_cmp_gt_i32_e64 s[8:9], s33, v5
	v_lshlrev_b32_e32 v5, 7, v15
	s_cselect_b64 s[14:15], -1, 0
	v_cmp_gt_u32_e64 s[6:7], 8, v12
	v_add_u32_e32 v22, v21, v19
	s_mov_b64 s[28:29], 0
	s_waitcnt lgkmcnt(0)
	v_mov_b32_e32 v24, s21
	v_add_u32_e32 v25, v6, v5
	s_branch .LBB75_9
.LBB75_7:                               ;   in Loop: Header=BB75_9 Depth=1
	s_or_b64 exec, exec, s[4:5]
.LBB75_8:                               ;   in Loop: Header=BB75_9 Depth=1
	s_or_b64 exec, exec, s[30:31]
	v_cmp_le_i32_e64 s[4:5], v13, v20
	s_xor_b64 s[30:31], vcc, -1
	s_or_b64 s[4:5], s[30:31], s[4:5]
	v_add_u32_e32 v5, -1, v13
	s_and_b64 s[4:5], exec, s[4:5]
	s_or_b64 s[28:29], s[4:5], s[28:29]
	v_mov_b32_e32 v13, v5
	s_andn2_b64 exec, exec, s[28:29]
	s_cbranch_execz .LBB75_25
.LBB75_9:                               ; =>This Loop Header: Depth=1
                                        ;     Child Loop BB75_17 Depth 2
	v_ashrrev_i32_e32 v14, 31, v13
	v_lshlrev_b64 v[5:6], 2, v[13:14]
	v_mov_b32_e32 v7, 0
	v_add_co_u32_e32 v5, vcc, s20, v5
	v_addc_co_u32_e32 v6, vcc, v24, v6, vcc
	global_load_dword v14, v[5:6], off
	v_mov_b32_e32 v5, 0
	v_mov_b32_e32 v6, 0
	;; [unrolled: 1-line block ×3, first 2 shown]
	s_and_saveexec_b64 s[4:5], s[8:9]
	s_cbranch_execz .LBB75_14
; %bb.10:                               ;   in Loop: Header=BB75_9 Depth=1
	v_mul_lo_u32 v7, v13, s33
	s_and_b64 vcc, exec, s[14:15]
	s_cbranch_vccz .LBB75_24
; %bb.11:                               ;   in Loop: Header=BB75_9 Depth=1
	v_add_u32_e32 v5, v7, v15
	v_mad_u64_u32 v[5:6], s[30:31], v5, s33, v[0:1]
	s_cbranch_execnz .LBB75_13
.LBB75_12:                              ;   in Loop: Header=BB75_9 Depth=1
	v_add_u32_e32 v5, v7, v0
	v_mad_u64_u32 v[5:6], s[30:31], v5, s33, v[15:16]
.LBB75_13:                              ;   in Loop: Header=BB75_9 Depth=1
	v_ashrrev_i32_e32 v6, 31, v5
	v_lshlrev_b64 v[5:6], 4, v[5:6]
	v_mov_b32_e32 v7, s23
	v_add_co_u32_e32 v5, vcc, s22, v5
	v_addc_co_u32_e32 v6, vcc, v7, v6, vcc
	global_load_dwordx4 v[5:8], v[5:6], off
.LBB75_14:                              ;   in Loop: Header=BB75_9 Depth=1
	s_or_b64 exec, exec, s[4:5]
	s_waitcnt vmcnt(0)
	v_subrev_u32_e32 v16, s12, v14
	v_cmp_gt_i32_e32 vcc, v16, v9
	ds_write_b128 v25, v[5:8]
	s_and_saveexec_b64 s[30:31], vcc
	s_cbranch_execz .LBB75_8
; %bb.15:                               ;   in Loop: Header=BB75_9 Depth=1
	v_ashrrev_i32_e32 v17, 31, v16
	v_lshlrev_b64 v[5:6], 2, v[16:17]
	v_mov_b32_e32 v7, s19
	v_add_co_u32_e64 v5, s[4:5], s18, v5
	v_addc_co_u32_e64 v6, s[4:5], v7, v6, s[4:5]
	global_load_dword v7, v[5:6], off glc
	s_waitcnt vmcnt(0)
	v_cmp_eq_u32_e64 s[4:5], 0, v7
	s_and_saveexec_b64 s[34:35], s[4:5]
	s_cbranch_execz .LBB75_18
; %bb.16:                               ;   in Loop: Header=BB75_9 Depth=1
	s_mov_b64 s[36:37], 0
.LBB75_17:                              ;   Parent Loop BB75_9 Depth=1
                                        ; =>  This Inner Loop Header: Depth=2
	global_load_dword v7, v[5:6], off glc
	s_waitcnt vmcnt(0)
	v_cmp_ne_u32_e64 s[4:5], 0, v7
	s_or_b64 s[36:37], s[4:5], s[36:37]
	s_andn2_b64 exec, exec, s[36:37]
	s_cbranch_execnz .LBB75_17
.LBB75_18:                              ;   in Loop: Header=BB75_9 Depth=1
	s_or_b64 exec, exec, s[34:35]
	s_waitcnt lgkmcnt(0)
	buffer_wbinvl1_vol
	s_and_saveexec_b64 s[34:35], s[6:7]
	s_cbranch_execz .LBB75_22
; %bb.19:                               ;   in Loop: Header=BB75_9 Depth=1
	v_mov_b32_e32 v7, 0
	v_mov_b32_e32 v5, 0
	;; [unrolled: 1-line block ×4, first 2 shown]
	s_and_saveexec_b64 s[36:37], s[10:11]
	s_cbranch_execz .LBB75_21
; %bb.20:                               ;   in Loop: Header=BB75_9 Depth=1
	v_mad_u64_u32 v[5:6], s[4:5], v16, s33, v[12:13]
	v_mov_b32_e32 v7, s17
	v_ashrrev_i32_e32 v6, 31, v5
	v_lshlrev_b64 v[5:6], 4, v[5:6]
	v_add_co_u32_e64 v5, s[4:5], s16, v5
	v_addc_co_u32_e64 v6, s[4:5], v7, v6, s[4:5]
	global_load_dwordx4 v[5:8], v[5:6], off
.LBB75_21:                              ;   in Loop: Header=BB75_9 Depth=1
	s_or_b64 exec, exec, s[36:37]
	s_waitcnt vmcnt(0)
	ds_write_b128 v22, v[5:8]
.LBB75_22:                              ;   in Loop: Header=BB75_9 Depth=1
	s_or_b64 exec, exec, s[34:35]
	s_waitcnt lgkmcnt(0)
	s_and_saveexec_b64 s[4:5], s[10:11]
	s_cbranch_execz .LBB75_7
; %bb.23:                               ;   in Loop: Header=BB75_9 Depth=1
	ds_read_b128 v[5:8], v23
	ds_read_b128 v[26:29], v21
	ds_read_b128 v[30:33], v21 offset:16
	ds_read_b128 v[34:37], v23 offset:128
	s_waitcnt lgkmcnt(2)
	v_fma_f64 v[1:2], -v[5:6], v[26:27], v[1:2]
	v_fma_f64 v[3:4], -v[7:8], v[26:27], v[3:4]
	v_fma_f64 v[1:2], v[7:8], v[28:29], v[1:2]
	v_fma_f64 v[3:4], -v[5:6], v[28:29], v[3:4]
	s_waitcnt lgkmcnt(0)
	v_fma_f64 v[1:2], -v[34:35], v[30:31], v[1:2]
	v_fma_f64 v[3:4], -v[36:37], v[30:31], v[3:4]
	v_fma_f64 v[36:37], v[36:37], v[32:33], v[1:2]
	v_fma_f64 v[34:35], -v[34:35], v[32:33], v[3:4]
	ds_read_b128 v[1:4], v23 offset:256
	ds_read_b128 v[5:8], v21 offset:32
	ds_read_b128 v[26:29], v21 offset:48
	ds_read_b128 v[30:33], v23 offset:384
	s_waitcnt lgkmcnt(2)
	v_fma_f64 v[36:37], -v[1:2], v[5:6], v[36:37]
	v_fma_f64 v[5:6], -v[3:4], v[5:6], v[34:35]
	v_fma_f64 v[3:4], v[3:4], v[7:8], v[36:37]
	v_fma_f64 v[1:2], -v[1:2], v[7:8], v[5:6]
	s_waitcnt lgkmcnt(0)
	v_fma_f64 v[3:4], -v[30:31], v[26:27], v[3:4]
	v_fma_f64 v[1:2], -v[32:33], v[26:27], v[1:2]
	v_fma_f64 v[34:35], v[32:33], v[28:29], v[3:4]
	v_fma_f64 v[36:37], -v[30:31], v[28:29], v[1:2]
	ds_read_b128 v[1:4], v21 offset:64
	ds_read_b128 v[5:8], v23 offset:512
	;; [unrolled: 14-line block ×3, first 2 shown]
	ds_read_b128 v[26:29], v23 offset:896
	ds_read_b128 v[30:33], v21 offset:112
	s_waitcnt lgkmcnt(2)
	v_fma_f64 v[34:35], -v[5:6], v[1:2], v[34:35]
	v_fma_f64 v[1:2], -v[7:8], v[1:2], v[36:37]
	v_fma_f64 v[7:8], v[7:8], v[3:4], v[34:35]
	v_fma_f64 v[1:2], -v[5:6], v[3:4], v[1:2]
	s_waitcnt lgkmcnt(0)
	v_fma_f64 v[3:4], -v[26:27], v[30:31], v[7:8]
	v_fma_f64 v[5:6], -v[28:29], v[30:31], v[1:2]
	v_fma_f64 v[1:2], v[28:29], v[32:33], v[3:4]
	v_fma_f64 v[3:4], -v[26:27], v[32:33], v[5:6]
	s_branch .LBB75_7
.LBB75_24:                              ;   in Loop: Header=BB75_9 Depth=1
                                        ; implicit-def: $vgpr5
	s_branch .LBB75_12
.LBB75_25:
	s_or_b64 exec, exec, s[28:29]
.LBB75_26:
	s_or_b64 exec, exec, s[26:27]
	s_cmp_gt_i32 s33, 0
	v_cmp_eq_u32_e32 vcc, v16, v9
	s_cselect_b64 s[4:5], -1, 0
	s_and_b64 s[6:7], s[4:5], vcc
	s_mov_b64 s[4:5], 0
	s_and_saveexec_b64 s[8:9], s[6:7]
	s_cbranch_execnz .LBB75_30
; %bb.27:
	s_or_b64 exec, exec, s[8:9]
	s_and_saveexec_b64 s[6:7], s[10:11]
	s_cbranch_execnz .LBB75_44
.LBB75_28:
	s_or_b64 exec, exec, s[6:7]
	v_cmp_eq_u32_e32 vcc, 0, v12
	s_and_b64 exec, exec, vcc
	s_cbranch_execnz .LBB75_45
.LBB75_29:
	s_endpgm
.LBB75_30:
	v_lshlrev_b32_e32 v5, 10, v18
	v_lshl_add_u32 v6, s33, 7, v5
	s_movk_i32 s6, 0xff80
	s_cmp_eq_u32 s13, 0
	v_add3_u32 v17, v6, v19, s6
	s_mul_i32 s6, s33, 0x90
	s_cselect_b64 s[4:5], -1, 0
	v_mbcnt_lo_u32_b32 v0, -1, 0
	v_add_u32_e32 v5, s6, v5
	v_mbcnt_hi_u32_b32 v0, -1, v0
	v_add_u32_e32 v18, 0xffffff70, v5
	v_cndmask_b32_e64 v5, 0, 1, s[4:5]
	v_and_b32_e32 v0, 64, v0
	s_add_i32 s13, s33, -1
	s_mov_b64 s[20:21], 0
	v_cmp_ne_u32_e64 s[6:7], 1, v5
                                        ; implicit-def: $sgpr14_sgpr15
	s_and_b64 vcc, exec, s[6:7]
	s_cbranch_vccz .LBB75_32
.LBB75_31:
	v_mov_b32_e32 v5, 0
	v_mov_b32_e32 v7, 0
	;; [unrolled: 1-line block ×4, first 2 shown]
	s_branch .LBB75_33
.LBB75_32:
	ds_read_b128 v[5:8], v18
.LBB75_33:
	s_waitcnt lgkmcnt(0)
	v_cmp_neq_f64_e32 vcc, 0, v[5:6]
	v_cmp_neq_f64_e64 s[4:5], 0, v[7:8]
	v_and_or_b32 v13, s13, 63, v0
	v_lshlrev_b32_e32 v14, 2, v13
	ds_bpermute_b32 v15, v14, v1
	ds_bpermute_b32 v16, v14, v2
	;; [unrolled: 1-line block ×4, first 2 shown]
	s_or_b64 s[14:15], s[14:15], exec
	s_or_b64 s[22:23], vcc, s[4:5]
	s_and_saveexec_b64 s[4:5], s[22:23]
	s_cbranch_execz .LBB75_35
; %bb.34:
	v_mul_f64 v[19:20], v[7:8], v[7:8]
	s_andn2_b64 s[14:15], s[14:15], exec
	s_and_b64 s[20:21], s[20:21], exec
	s_or_b64 s[14:15], s[14:15], s[20:21]
	v_fma_f64 v[19:20], v[5:6], v[5:6], v[19:20]
	v_div_scale_f64 v[21:22], s[22:23], v[19:20], v[19:20], 1.0
	v_rcp_f64_e32 v[23:24], v[21:22]
	v_fma_f64 v[25:26], -v[21:22], v[23:24], 1.0
	v_fma_f64 v[23:24], v[23:24], v[25:26], v[23:24]
	v_div_scale_f64 v[25:26], vcc, 1.0, v[19:20], 1.0
	v_fma_f64 v[27:28], -v[21:22], v[23:24], 1.0
	v_fma_f64 v[23:24], v[23:24], v[27:28], v[23:24]
	v_mul_f64 v[27:28], v[25:26], v[23:24]
	v_fma_f64 v[21:22], -v[21:22], v[27:28], v[25:26]
	v_div_fmas_f64 v[21:22], v[21:22], v[23:24], v[27:28]
	s_waitcnt lgkmcnt(0)
	v_mul_f64 v[23:24], v[7:8], v[13:14]
	v_mul_f64 v[7:8], v[7:8], -v[15:16]
	v_fma_f64 v[15:16], v[15:16], v[5:6], v[23:24]
	v_fma_f64 v[5:6], v[13:14], v[5:6], v[7:8]
	v_div_fixup_f64 v[19:20], v[21:22], v[19:20], 1.0
	v_mul_f64 v[15:16], v[19:20], v[15:16]
	v_mul_f64 v[13:14], v[19:20], v[5:6]
.LBB75_35:
	s_or_b64 exec, exec, s[4:5]
	s_and_saveexec_b64 s[4:5], s[10:11]
	s_cbranch_execz .LBB75_41
; %bb.36:
	v_cmp_le_i32_e32 vcc, s13, v12
	s_and_saveexec_b64 s[20:21], vcc
	s_xor_b64 s[20:21], exec, s[20:21]
	s_cbranch_execz .LBB75_38
; %bb.37:
	v_cmp_eq_u32_e32 vcc, s13, v12
	s_waitcnt lgkmcnt(2)
	v_cndmask_b32_e32 v2, v2, v16, vcc
	v_cndmask_b32_e32 v1, v1, v15, vcc
	s_waitcnt lgkmcnt(0)
	v_cndmask_b32_e32 v4, v4, v14, vcc
	v_cndmask_b32_e32 v3, v3, v13, vcc
                                        ; implicit-def: $vgpr15_vgpr16
                                        ; implicit-def: $vgpr13_vgpr14
.LBB75_38:
	s_andn2_saveexec_b64 s[20:21], s[20:21]
	s_cbranch_execz .LBB75_40
; %bb.39:
	ds_read_b128 v[5:8], v17
	s_waitcnt lgkmcnt(0)
	v_fma_f64 v[1:2], -v[15:16], v[5:6], v[1:2]
	v_fma_f64 v[3:4], -v[13:14], v[5:6], v[3:4]
	v_fma_f64 v[1:2], v[13:14], v[7:8], v[1:2]
	v_fma_f64 v[3:4], -v[15:16], v[7:8], v[3:4]
.LBB75_40:
	s_or_b64 exec, exec, s[20:21]
.LBB75_41:
	s_or_b64 exec, exec, s[4:5]
	s_add_i32 s4, s13, -1
	s_add_i32 s5, s13, 1
	v_add_u32_e32 v17, 0xffffff80, v17
	s_cmp_gt_u32 s5, 1
	v_add_u32_e32 v18, 0xffffff70, v18
	s_cbranch_scc0 .LBB75_43
; %bb.42:
	s_mov_b64 s[20:21], s[14:15]
	s_mov_b32 s13, s4
	s_and_b64 vcc, exec, s[6:7]
	s_cbranch_vccnz .LBB75_31
	s_branch .LBB75_32
.LBB75_43:
	s_and_b64 s[4:5], s[14:15], exec
	s_or_b64 exec, exec, s[8:9]
	s_and_saveexec_b64 s[6:7], s[10:11]
	s_cbranch_execz .LBB75_28
.LBB75_44:
	s_waitcnt lgkmcnt(0)
	v_mad_u64_u32 v[5:6], s[8:9], v9, s33, v[12:13]
	v_mov_b32_e32 v0, s17
	v_ashrrev_i32_e32 v6, 31, v5
	v_lshlrev_b64 v[5:6], 4, v[5:6]
	v_add_co_u32_e32 v5, vcc, s16, v5
	v_addc_co_u32_e32 v6, vcc, v0, v6, vcc
	global_store_dwordx4 v[5:6], v[1:4], off
	s_or_b64 exec, exec, s[6:7]
	v_cmp_eq_u32_e32 vcc, 0, v12
	s_and_b64 exec, exec, vcc
	s_cbranch_execz .LBB75_29
.LBB75_45:
	v_mov_b32_e32 v1, s19
	v_add_co_u32_e32 v0, vcc, s18, v10
	v_addc_co_u32_e32 v1, vcc, v1, v11, vcc
	v_mov_b32_e32 v2, 1
	s_waitcnt vmcnt(0) lgkmcnt(0)
	global_store_dword v[0:1], v2, off
	s_and_b64 exec, exec, s[4:5]
	s_cbranch_execz .LBB75_29
; %bb.46:
	s_mov_b64 s[4:5], exec
	v_add_u32_e32 v0, s12, v9
	s_brev_b32 s6, -2
.LBB75_47:                              ; =>This Inner Loop Header: Depth=1
	s_ff1_i32_b64 s7, s[4:5]
	v_readlane_b32 s10, v0, s7
	s_lshl_b64 s[8:9], 1, s7
	s_min_i32 s6, s6, s10
	s_andn2_b64 s[4:5], s[4:5], s[8:9]
	s_cmp_lg_u64 s[4:5], 0
	s_cbranch_scc1 .LBB75_47
; %bb.48:
	v_mbcnt_lo_u32_b32 v0, exec_lo, 0
	v_mbcnt_hi_u32_b32 v0, exec_hi, v0
	v_cmp_eq_u32_e32 vcc, 0, v0
	s_and_saveexec_b64 s[4:5], vcc
	s_xor_b64 s[4:5], exec, s[4:5]
	s_cbranch_execz .LBB75_29
; %bb.49:
	v_mov_b32_e32 v0, 0
	v_mov_b32_e32 v1, s6
	global_atomic_smin v0, v1, s[24:25]
	s_endpgm
	.section	.rodata,"a",@progbits
	.p2align	6, 0x0
	.amdhsa_kernel _ZN9rocsparseL18bsrsv_upper_sharedILj128ELj64ELi8ELb0E21rocsparse_complex_numIdEEEviNS_24const_host_device_scalarIT3_EEPKiS7_PKS4_iS9_PS4_PiSB_SB_21rocsparse_index_base_20rocsparse_diag_type_20rocsparse_direction_b
		.amdhsa_group_segment_fixed_size 2304
		.amdhsa_private_segment_fixed_size 16
		.amdhsa_kernarg_size 112
		.amdhsa_user_sgpr_count 8
		.amdhsa_user_sgpr_private_segment_buffer 1
		.amdhsa_user_sgpr_dispatch_ptr 0
		.amdhsa_user_sgpr_queue_ptr 0
		.amdhsa_user_sgpr_kernarg_segment_ptr 1
		.amdhsa_user_sgpr_dispatch_id 0
		.amdhsa_user_sgpr_flat_scratch_init 1
		.amdhsa_user_sgpr_private_segment_size 0
		.amdhsa_uses_dynamic_stack 0
		.amdhsa_system_sgpr_private_segment_wavefront_offset 1
		.amdhsa_system_sgpr_workgroup_id_x 1
		.amdhsa_system_sgpr_workgroup_id_y 0
		.amdhsa_system_sgpr_workgroup_id_z 0
		.amdhsa_system_sgpr_workgroup_info 0
		.amdhsa_system_vgpr_workitem_id 0
		.amdhsa_next_free_vgpr 38
		.amdhsa_next_free_sgpr 59
		.amdhsa_reserve_vcc 1
		.amdhsa_reserve_flat_scratch 1
		.amdhsa_float_round_mode_32 0
		.amdhsa_float_round_mode_16_64 0
		.amdhsa_float_denorm_mode_32 3
		.amdhsa_float_denorm_mode_16_64 3
		.amdhsa_dx10_clamp 1
		.amdhsa_ieee_mode 1
		.amdhsa_fp16_overflow 0
		.amdhsa_exception_fp_ieee_invalid_op 0
		.amdhsa_exception_fp_denorm_src 0
		.amdhsa_exception_fp_ieee_div_zero 0
		.amdhsa_exception_fp_ieee_overflow 0
		.amdhsa_exception_fp_ieee_underflow 0
		.amdhsa_exception_fp_ieee_inexact 0
		.amdhsa_exception_int_div_zero 0
	.end_amdhsa_kernel
	.section	.text._ZN9rocsparseL18bsrsv_upper_sharedILj128ELj64ELi8ELb0E21rocsparse_complex_numIdEEEviNS_24const_host_device_scalarIT3_EEPKiS7_PKS4_iS9_PS4_PiSB_SB_21rocsparse_index_base_20rocsparse_diag_type_20rocsparse_direction_b,"axG",@progbits,_ZN9rocsparseL18bsrsv_upper_sharedILj128ELj64ELi8ELb0E21rocsparse_complex_numIdEEEviNS_24const_host_device_scalarIT3_EEPKiS7_PKS4_iS9_PS4_PiSB_SB_21rocsparse_index_base_20rocsparse_diag_type_20rocsparse_direction_b,comdat
.Lfunc_end75:
	.size	_ZN9rocsparseL18bsrsv_upper_sharedILj128ELj64ELi8ELb0E21rocsparse_complex_numIdEEEviNS_24const_host_device_scalarIT3_EEPKiS7_PKS4_iS9_PS4_PiSB_SB_21rocsparse_index_base_20rocsparse_diag_type_20rocsparse_direction_b, .Lfunc_end75-_ZN9rocsparseL18bsrsv_upper_sharedILj128ELj64ELi8ELb0E21rocsparse_complex_numIdEEEviNS_24const_host_device_scalarIT3_EEPKiS7_PKS4_iS9_PS4_PiSB_SB_21rocsparse_index_base_20rocsparse_diag_type_20rocsparse_direction_b
                                        ; -- End function
	.set _ZN9rocsparseL18bsrsv_upper_sharedILj128ELj64ELi8ELb0E21rocsparse_complex_numIdEEEviNS_24const_host_device_scalarIT3_EEPKiS7_PKS4_iS9_PS4_PiSB_SB_21rocsparse_index_base_20rocsparse_diag_type_20rocsparse_direction_b.num_vgpr, 38
	.set _ZN9rocsparseL18bsrsv_upper_sharedILj128ELj64ELi8ELb0E21rocsparse_complex_numIdEEEviNS_24const_host_device_scalarIT3_EEPKiS7_PKS4_iS9_PS4_PiSB_SB_21rocsparse_index_base_20rocsparse_diag_type_20rocsparse_direction_b.num_agpr, 0
	.set _ZN9rocsparseL18bsrsv_upper_sharedILj128ELj64ELi8ELb0E21rocsparse_complex_numIdEEEviNS_24const_host_device_scalarIT3_EEPKiS7_PKS4_iS9_PS4_PiSB_SB_21rocsparse_index_base_20rocsparse_diag_type_20rocsparse_direction_b.numbered_sgpr, 38
	.set _ZN9rocsparseL18bsrsv_upper_sharedILj128ELj64ELi8ELb0E21rocsparse_complex_numIdEEEviNS_24const_host_device_scalarIT3_EEPKiS7_PKS4_iS9_PS4_PiSB_SB_21rocsparse_index_base_20rocsparse_diag_type_20rocsparse_direction_b.num_named_barrier, 0
	.set _ZN9rocsparseL18bsrsv_upper_sharedILj128ELj64ELi8ELb0E21rocsparse_complex_numIdEEEviNS_24const_host_device_scalarIT3_EEPKiS7_PKS4_iS9_PS4_PiSB_SB_21rocsparse_index_base_20rocsparse_diag_type_20rocsparse_direction_b.private_seg_size, 16
	.set _ZN9rocsparseL18bsrsv_upper_sharedILj128ELj64ELi8ELb0E21rocsparse_complex_numIdEEEviNS_24const_host_device_scalarIT3_EEPKiS7_PKS4_iS9_PS4_PiSB_SB_21rocsparse_index_base_20rocsparse_diag_type_20rocsparse_direction_b.uses_vcc, 1
	.set _ZN9rocsparseL18bsrsv_upper_sharedILj128ELj64ELi8ELb0E21rocsparse_complex_numIdEEEviNS_24const_host_device_scalarIT3_EEPKiS7_PKS4_iS9_PS4_PiSB_SB_21rocsparse_index_base_20rocsparse_diag_type_20rocsparse_direction_b.uses_flat_scratch, 1
	.set _ZN9rocsparseL18bsrsv_upper_sharedILj128ELj64ELi8ELb0E21rocsparse_complex_numIdEEEviNS_24const_host_device_scalarIT3_EEPKiS7_PKS4_iS9_PS4_PiSB_SB_21rocsparse_index_base_20rocsparse_diag_type_20rocsparse_direction_b.has_dyn_sized_stack, 0
	.set _ZN9rocsparseL18bsrsv_upper_sharedILj128ELj64ELi8ELb0E21rocsparse_complex_numIdEEEviNS_24const_host_device_scalarIT3_EEPKiS7_PKS4_iS9_PS4_PiSB_SB_21rocsparse_index_base_20rocsparse_diag_type_20rocsparse_direction_b.has_recursion, 0
	.set _ZN9rocsparseL18bsrsv_upper_sharedILj128ELj64ELi8ELb0E21rocsparse_complex_numIdEEEviNS_24const_host_device_scalarIT3_EEPKiS7_PKS4_iS9_PS4_PiSB_SB_21rocsparse_index_base_20rocsparse_diag_type_20rocsparse_direction_b.has_indirect_call, 0
	.section	.AMDGPU.csdata,"",@progbits
; Kernel info:
; codeLenInByte = 2216
; TotalNumSgprs: 44
; NumVgprs: 38
; ScratchSize: 16
; MemoryBound: 1
; FloatMode: 240
; IeeeMode: 1
; LDSByteSize: 2304 bytes/workgroup (compile time only)
; SGPRBlocks: 8
; VGPRBlocks: 9
; NumSGPRsForWavesPerEU: 65
; NumVGPRsForWavesPerEU: 38
; Occupancy: 6
; WaveLimiterHint : 1
; COMPUTE_PGM_RSRC2:SCRATCH_EN: 1
; COMPUTE_PGM_RSRC2:USER_SGPR: 8
; COMPUTE_PGM_RSRC2:TRAP_HANDLER: 0
; COMPUTE_PGM_RSRC2:TGID_X_EN: 1
; COMPUTE_PGM_RSRC2:TGID_Y_EN: 0
; COMPUTE_PGM_RSRC2:TGID_Z_EN: 0
; COMPUTE_PGM_RSRC2:TIDIG_COMP_CNT: 0
	.section	.text._ZN9rocsparseL18bsrsv_lower_sharedILj128ELj64ELi16ELb1E21rocsparse_complex_numIdEEEviNS_24const_host_device_scalarIT3_EEPKiS7_PKS4_iS9_PS4_PiSB_SB_21rocsparse_index_base_20rocsparse_diag_type_20rocsparse_direction_b,"axG",@progbits,_ZN9rocsparseL18bsrsv_lower_sharedILj128ELj64ELi16ELb1E21rocsparse_complex_numIdEEEviNS_24const_host_device_scalarIT3_EEPKiS7_PKS4_iS9_PS4_PiSB_SB_21rocsparse_index_base_20rocsparse_diag_type_20rocsparse_direction_b,comdat
	.globl	_ZN9rocsparseL18bsrsv_lower_sharedILj128ELj64ELi16ELb1E21rocsparse_complex_numIdEEEviNS_24const_host_device_scalarIT3_EEPKiS7_PKS4_iS9_PS4_PiSB_SB_21rocsparse_index_base_20rocsparse_diag_type_20rocsparse_direction_b ; -- Begin function _ZN9rocsparseL18bsrsv_lower_sharedILj128ELj64ELi16ELb1E21rocsparse_complex_numIdEEEviNS_24const_host_device_scalarIT3_EEPKiS7_PKS4_iS9_PS4_PiSB_SB_21rocsparse_index_base_20rocsparse_diag_type_20rocsparse_direction_b
	.p2align	8
	.type	_ZN9rocsparseL18bsrsv_lower_sharedILj128ELj64ELi16ELb1E21rocsparse_complex_numIdEEEviNS_24const_host_device_scalarIT3_EEPKiS7_PKS4_iS9_PS4_PiSB_SB_21rocsparse_index_base_20rocsparse_diag_type_20rocsparse_direction_b,@function
_ZN9rocsparseL18bsrsv_lower_sharedILj128ELj64ELi16ELb1E21rocsparse_complex_numIdEEEviNS_24const_host_device_scalarIT3_EEPKiS7_PKS4_iS9_PS4_PiSB_SB_21rocsparse_index_base_20rocsparse_diag_type_20rocsparse_direction_b: ; @_ZN9rocsparseL18bsrsv_lower_sharedILj128ELj64ELi16ELb1E21rocsparse_complex_numIdEEEviNS_24const_host_device_scalarIT3_EEPKiS7_PKS4_iS9_PS4_PiSB_SB_21rocsparse_index_base_20rocsparse_diag_type_20rocsparse_direction_b
; %bb.0:
	s_add_u32 flat_scratch_lo, s6, s9
	s_load_dwordx4 s[12:15], s[4:5], 0x60
	s_load_dwordx4 s[16:19], s[4:5], 0x8
	s_addc_u32 flat_scratch_hi, s7, 0
	s_add_u32 s0, s0, s9
	s_addc_u32 s1, s1, 0
	s_waitcnt lgkmcnt(0)
	s_bitcmp1_b32 s15, 0
	s_cselect_b64 s[10:11], -1, 0
	s_mov_b64 s[6:7], src_private_base
	v_mov_b32_e32 v1, s17
	s_and_b64 vcc, s[10:11], exec
	buffer_store_dword v1, off, s[0:3], 0 offset:4
	v_mov_b32_e32 v1, s16
	s_cselect_b32 s6, s7, s17
	s_cselect_b32 s7, 0, s16
	buffer_store_dword v1, off, s[0:3], 0
	v_mov_b32_e32 v1, s7
	v_mov_b32_e32 v2, s6
	flat_load_dwordx2 v[1:2], v[1:2]
	v_mov_b32_e32 v7, s18
	v_mov_b32_e32 v8, s19
	s_cbranch_vccnz .LBB76_2
; %bb.1:
	v_mov_b32_e32 v3, s16
	v_mov_b32_e32 v4, s17
	flat_load_dwordx2 v[7:8], v[3:4] offset:8
.LBB76_2:
	s_load_dword s9, s[4:5], 0x0
	s_lshl_b32 s6, s8, 1
	v_lshrrev_b32_e32 v13, 6, v0
	s_and_b32 s6, s6, 0x3fffffe
	v_or_b32_e32 v3, s6, v13
	s_waitcnt lgkmcnt(0)
	v_cmp_gt_i32_e32 vcc, s9, v3
	s_and_saveexec_b64 s[6:7], vcc
	s_cbranch_execz .LBB76_33
; %bb.3:
	s_load_dwordx2 s[6:7], s[4:5], 0x50
	s_load_dwordx4 s[16:19], s[4:5], 0x40
	v_lshlrev_b32_e32 v3, 2, v3
	v_and_b32_e32 v12, 63, v0
	v_mov_b32_e32 v5, 0
	s_waitcnt lgkmcnt(0)
	global_load_dword v9, v3, s[6:7]
	s_load_dwordx2 s[6:7], s[4:5], 0x18
	s_load_dword s33, s[4:5], 0x30
	v_mov_b32_e32 v6, 0
	s_waitcnt lgkmcnt(0)
	v_mov_b32_e32 v4, s7
	v_cmp_gt_i32_e64 s[10:11], s33, v12
	s_waitcnt vmcnt(0)
	v_ashrrev_i32_e32 v10, 31, v9
	v_lshlrev_b64 v[10:11], 2, v[9:10]
	v_add_co_u32_e32 v3, vcc, s6, v10
	v_addc_co_u32_e32 v4, vcc, v4, v11, vcc
	global_load_dwordx2 v[15:16], v[3:4], off
	v_mov_b32_e32 v3, 0
	v_mov_b32_e32 v4, 0
	s_and_saveexec_b64 s[6:7], s[10:11]
	s_cbranch_execz .LBB76_5
; %bb.4:
	v_mad_u64_u32 v[3:4], s[20:21], v9, s33, v[12:13]
	s_load_dwordx2 s[20:21], s[4:5], 0x38
	v_ashrrev_i32_e32 v4, 31, v3
	v_lshlrev_b64 v[3:4], 4, v[3:4]
	s_waitcnt lgkmcnt(0)
	v_mov_b32_e32 v5, s21
	v_add_co_u32_e32 v3, vcc, s20, v3
	v_addc_co_u32_e32 v4, vcc, v5, v4, vcc
	global_load_dwordx4 v[3:6], v[3:4], off
.LBB76_5:
	s_or_b64 exec, exec, s[6:7]
	s_waitcnt vmcnt(0)
	v_mul_f64 v[17:18], v[5:6], -v[7:8]
	v_mul_f64 v[5:6], v[1:2], v[5:6]
	s_load_dwordx2 s[24:25], s[4:5], 0x58
	v_cmp_lt_i32_e32 vcc, v15, v16
	v_mov_b32_e32 v14, s9
	v_fma_f64 v[1:2], v[1:2], v[3:4], v[17:18]
	v_fma_f64 v[3:4], v[7:8], v[3:4], v[5:6]
	v_lshlrev_b32_e32 v17, 12, v13
	s_and_saveexec_b64 s[26:27], vcc
	s_cbranch_execz .LBB76_30
; %bb.6:
	v_mov_b32_e32 v5, 0x2000
	v_lshl_or_b32 v18, v13, 8, v5
	v_subrev_u32_e32 v13, s12, v15
	v_and_b32_e32 v0, 15, v0
	s_load_dwordx4 s[20:23], s[4:5], 0x20
	v_mad_u64_u32 v[5:6], s[4:5], s33, v13, v[0:1]
	v_lshrrev_b32_e32 v19, 4, v12
	v_lshlrev_b32_e32 v6, 4, v12
	v_mul_lo_u32 v22, s33, v5
	s_cmp_lg_u32 s14, 0
	v_add_u32_e32 v20, v18, v6
	v_add_u32_e32 v21, v17, v6
	v_lshlrev_b32_e32 v5, 8, v19
	v_lshlrev_b32_e32 v6, 4, v0
	v_subrev_u32_e32 v16, s12, v16
	v_cmp_gt_i32_e64 s[6:7], s33, v0
	s_cselect_b64 s[14:15], -1, 0
	v_cmp_gt_u32_e64 s[8:9], 16, v12
	s_mul_i32 s38, s33, s33
	v_add3_u32 v23, v17, v5, v6
	s_mov_b64 s[28:29], 0
	s_waitcnt lgkmcnt(0)
	v_mov_b32_e32 v24, s21
	s_branch .LBB76_9
.LBB76_7:                               ;   in Loop: Header=BB76_9 Depth=1
	s_or_b64 exec, exec, s[4:5]
.LBB76_8:                               ;   in Loop: Header=BB76_9 Depth=1
	s_or_b64 exec, exec, s[30:31]
	v_add_u32_e32 v13, 1, v13
	v_cmp_ge_i32_e64 s[4:5], v13, v16
	s_xor_b64 s[30:31], vcc, -1
	s_or_b64 s[4:5], s[30:31], s[4:5]
	s_and_b64 s[4:5], exec, s[4:5]
	s_or_b64 s[28:29], s[4:5], s[28:29]
	v_add_u32_e32 v22, s38, v22
	s_andn2_b64 exec, exec, s[28:29]
	s_cbranch_execz .LBB76_29
.LBB76_9:                               ; =>This Loop Header: Depth=1
                                        ;     Child Loop BB76_12 Depth 2
                                        ;     Child Loop BB76_21 Depth 2
                                        ;       Child Loop BB76_22 Depth 3
	v_ashrrev_i32_e32 v14, 31, v13
	v_lshlrev_b64 v[5:6], 2, v[13:14]
	v_mul_lo_u32 v15, v13, s33
	v_add_co_u32_e32 v5, vcc, s20, v5
	v_addc_co_u32_e32 v6, vcc, v24, v6, vcc
	global_load_dword v14, v[5:6], off
	s_mov_b64 s[4:5], 0
	v_mov_b32_e32 v25, v23
	v_mov_b32_e32 v26, v19
	s_branch .LBB76_12
.LBB76_10:                              ;   in Loop: Header=BB76_12 Depth=2
	v_ashrrev_i32_e32 v6, 31, v5
	v_lshlrev_b64 v[5:6], 4, v[5:6]
	v_mov_b32_e32 v7, s23
	v_add_co_u32_e32 v5, vcc, s22, v5
	v_addc_co_u32_e32 v6, vcc, v7, v6, vcc
	global_load_dwordx4 v[5:8], v[5:6], off
.LBB76_11:                              ;   in Loop: Header=BB76_12 Depth=2
	s_or_b64 exec, exec, s[30:31]
	s_waitcnt vmcnt(0)
	ds_write_b128 v25, v[5:8]
	v_add_u32_e32 v5, 4, v26
	v_cmp_lt_u32_e32 vcc, 11, v26
	v_add_u32_e32 v25, 0x400, v25
	s_or_b64 s[4:5], vcc, s[4:5]
	v_mov_b32_e32 v26, v5
	s_andn2_b64 exec, exec, s[4:5]
	s_cbranch_execz .LBB76_17
.LBB76_12:                              ;   Parent Loop BB76_9 Depth=1
                                        ; =>  This Inner Loop Header: Depth=2
	v_cmp_gt_i32_e32 vcc, s33, v26
	v_mov_b32_e32 v5, 0
	v_mov_b32_e32 v7, 0
	;; [unrolled: 1-line block ×4, first 2 shown]
	s_and_b64 s[34:35], s[6:7], vcc
	s_and_saveexec_b64 s[30:31], s[34:35]
	s_cbranch_execz .LBB76_11
; %bb.13:                               ;   in Loop: Header=BB76_12 Depth=2
	s_and_b64 vcc, exec, s[14:15]
	s_cbranch_vccz .LBB76_15
; %bb.14:                               ;   in Loop: Header=BB76_12 Depth=2
	v_add_u32_e32 v5, v26, v15
	v_mad_u64_u32 v[5:6], s[34:35], v5, s33, v[0:1]
	s_cbranch_execnz .LBB76_10
	s_branch .LBB76_16
.LBB76_15:                              ;   in Loop: Header=BB76_12 Depth=2
                                        ; implicit-def: $vgpr5
.LBB76_16:                              ;   in Loop: Header=BB76_12 Depth=2
	v_add_u32_e32 v5, v22, v26
	s_branch .LBB76_10
.LBB76_17:                              ;   in Loop: Header=BB76_9 Depth=1
	s_or_b64 exec, exec, s[4:5]
	v_subrev_u32_e32 v14, s12, v14
	v_cmp_lt_i32_e32 vcc, v14, v9
	s_and_saveexec_b64 s[30:31], vcc
	s_cbranch_execz .LBB76_8
; %bb.18:                               ;   in Loop: Header=BB76_9 Depth=1
	v_ashrrev_i32_e32 v15, 31, v14
	v_lshlrev_b64 v[5:6], 2, v[14:15]
	v_mov_b32_e32 v7, s19
	v_add_co_u32_e64 v5, s[4:5], s18, v5
	v_addc_co_u32_e64 v6, s[4:5], v7, v6, s[4:5]
	global_load_dword v7, v[5:6], off glc
	s_waitcnt vmcnt(0)
	v_cmp_eq_u32_e64 s[4:5], 0, v7
	s_and_saveexec_b64 s[34:35], s[4:5]
	s_cbranch_execz .LBB76_23
; %bb.19:                               ;   in Loop: Header=BB76_9 Depth=1
	s_mov_b32 s21, 0
	s_mov_b64 s[36:37], 0
	s_branch .LBB76_21
.LBB76_20:                              ;   in Loop: Header=BB76_21 Depth=2
	global_load_dword v7, v[5:6], off glc
	s_cmpk_lt_u32 s21, 0xf43
	s_cselect_b64 s[4:5], -1, 0
	s_cmp_lg_u64 s[4:5], 0
	s_addc_u32 s21, s21, 0
	s_waitcnt vmcnt(0)
	v_cmp_ne_u32_e64 s[4:5], 0, v7
	s_or_b64 s[36:37], s[4:5], s[36:37]
	s_andn2_b64 exec, exec, s[36:37]
	s_cbranch_execz .LBB76_23
.LBB76_21:                              ;   Parent Loop BB76_9 Depth=1
                                        ; =>  This Loop Header: Depth=2
                                        ;       Child Loop BB76_22 Depth 3
	s_cmp_eq_u32 s21, 0
	s_mov_b32 s4, s21
	s_cbranch_scc1 .LBB76_20
.LBB76_22:                              ;   Parent Loop BB76_9 Depth=1
                                        ;     Parent Loop BB76_21 Depth=2
                                        ; =>    This Inner Loop Header: Depth=3
	s_add_i32 s4, s4, -1
	s_cmp_eq_u32 s4, 0
	s_sleep 1
	s_cbranch_scc0 .LBB76_22
	s_branch .LBB76_20
.LBB76_23:                              ;   in Loop: Header=BB76_9 Depth=1
	s_or_b64 exec, exec, s[34:35]
	s_waitcnt lgkmcnt(0)
	buffer_wbinvl1_vol
	s_and_saveexec_b64 s[34:35], s[8:9]
	s_cbranch_execz .LBB76_27
; %bb.24:                               ;   in Loop: Header=BB76_9 Depth=1
	v_mov_b32_e32 v7, 0
	v_mov_b32_e32 v5, 0
	;; [unrolled: 1-line block ×4, first 2 shown]
	s_and_saveexec_b64 s[36:37], s[10:11]
	s_cbranch_execz .LBB76_26
; %bb.25:                               ;   in Loop: Header=BB76_9 Depth=1
	v_mad_u64_u32 v[5:6], s[4:5], v14, s33, v[12:13]
	v_mov_b32_e32 v7, s17
	v_ashrrev_i32_e32 v6, 31, v5
	v_lshlrev_b64 v[5:6], 4, v[5:6]
	v_add_co_u32_e64 v5, s[4:5], s16, v5
	v_addc_co_u32_e64 v6, s[4:5], v7, v6, s[4:5]
	global_load_dwordx4 v[5:8], v[5:6], off
.LBB76_26:                              ;   in Loop: Header=BB76_9 Depth=1
	s_or_b64 exec, exec, s[36:37]
	s_waitcnt vmcnt(0)
	ds_write_b128 v20, v[5:8]
.LBB76_27:                              ;   in Loop: Header=BB76_9 Depth=1
	s_or_b64 exec, exec, s[34:35]
	s_waitcnt lgkmcnt(0)
	s_and_saveexec_b64 s[4:5], s[10:11]
	s_cbranch_execz .LBB76_7
; %bb.28:                               ;   in Loop: Header=BB76_9 Depth=1
	ds_read_b128 v[5:8], v21
	ds_read_b128 v[25:28], v18
	ds_read_b128 v[29:32], v18 offset:16
	ds_read_b128 v[33:36], v21 offset:256
	s_waitcnt lgkmcnt(2)
	v_fma_f64 v[1:2], -v[5:6], v[25:26], v[1:2]
	v_fma_f64 v[3:4], -v[7:8], v[25:26], v[3:4]
	v_fma_f64 v[1:2], v[7:8], v[27:28], v[1:2]
	v_fma_f64 v[3:4], -v[5:6], v[27:28], v[3:4]
	s_waitcnt lgkmcnt(0)
	v_fma_f64 v[1:2], -v[33:34], v[29:30], v[1:2]
	v_fma_f64 v[3:4], -v[35:36], v[29:30], v[3:4]
	v_fma_f64 v[35:36], v[35:36], v[31:32], v[1:2]
	v_fma_f64 v[33:34], -v[33:34], v[31:32], v[3:4]
	ds_read_b128 v[1:4], v21 offset:512
	ds_read_b128 v[5:8], v18 offset:32
	ds_read_b128 v[25:28], v18 offset:48
	ds_read_b128 v[29:32], v21 offset:768
	s_waitcnt lgkmcnt(2)
	v_fma_f64 v[35:36], -v[1:2], v[5:6], v[35:36]
	v_fma_f64 v[5:6], -v[3:4], v[5:6], v[33:34]
	v_fma_f64 v[3:4], v[3:4], v[7:8], v[35:36]
	v_fma_f64 v[1:2], -v[1:2], v[7:8], v[5:6]
	s_waitcnt lgkmcnt(0)
	v_fma_f64 v[3:4], -v[29:30], v[25:26], v[3:4]
	v_fma_f64 v[1:2], -v[31:32], v[25:26], v[1:2]
	v_fma_f64 v[33:34], v[31:32], v[27:28], v[3:4]
	v_fma_f64 v[35:36], -v[29:30], v[27:28], v[1:2]
	ds_read_b128 v[1:4], v18 offset:64
	ds_read_b128 v[5:8], v21 offset:1024
	;; [unrolled: 14-line block ×7, first 2 shown]
	ds_read_b128 v[25:28], v21 offset:3840
	ds_read_b128 v[29:32], v18 offset:240
	s_waitcnt lgkmcnt(2)
	v_fma_f64 v[33:34], -v[5:6], v[1:2], v[33:34]
	v_fma_f64 v[1:2], -v[7:8], v[1:2], v[35:36]
	v_fma_f64 v[7:8], v[7:8], v[3:4], v[33:34]
	v_fma_f64 v[1:2], -v[5:6], v[3:4], v[1:2]
	s_waitcnt lgkmcnt(0)
	v_fma_f64 v[3:4], -v[25:26], v[29:30], v[7:8]
	v_fma_f64 v[5:6], -v[27:28], v[29:30], v[1:2]
	v_fma_f64 v[1:2], v[27:28], v[31:32], v[3:4]
	v_fma_f64 v[3:4], -v[25:26], v[31:32], v[5:6]
	s_branch .LBB76_7
.LBB76_29:
	s_or_b64 exec, exec, s[28:29]
.LBB76_30:
	s_or_b64 exec, exec, s[26:27]
	s_cmp_gt_i32 s33, 0
	v_cmp_eq_u32_e32 vcc, v14, v9
	s_cselect_b64 s[4:5], -1, 0
	s_mov_b32 s22, 0
	s_and_b64 s[6:7], s[4:5], vcc
	s_mov_b64 s[4:5], 0
	s_and_saveexec_b64 s[8:9], s[6:7]
	s_cbranch_execnz .LBB76_34
; %bb.31:
	s_or_b64 exec, exec, s[8:9]
	s_and_saveexec_b64 s[6:7], s[10:11]
	s_cbranch_execnz .LBB76_48
.LBB76_32:
	s_or_b64 exec, exec, s[6:7]
	v_cmp_eq_u32_e32 vcc, 0, v12
	s_and_b64 exec, exec, vcc
	s_cbranch_execnz .LBB76_49
.LBB76_33:
	s_endpgm
.LBB76_34:
	s_cmp_eq_u32 s13, 0
	v_mbcnt_lo_u32_b32 v0, -1, 0
	s_cselect_b64 s[4:5], -1, 0
	v_mbcnt_hi_u32_b32 v0, -1, v0
	v_cndmask_b32_e64 v5, 0, 1, s[4:5]
	v_and_b32_e32 v0, 64, v0
	v_lshl_add_u32 v18, v12, 4, v17
	s_mov_b64 s[20:21], 0
	v_cmp_ne_u32_e64 s[6:7], 1, v5
                                        ; implicit-def: $sgpr14_sgpr15
	s_and_b64 vcc, exec, s[6:7]
	s_cbranch_vccz .LBB76_36
.LBB76_35:
	v_mov_b32_e32 v5, 0
	v_mov_b32_e32 v7, 0
	;; [unrolled: 1-line block ×4, first 2 shown]
	s_branch .LBB76_37
.LBB76_36:
	ds_read_b128 v[5:8], v17
.LBB76_37:
	s_waitcnt lgkmcnt(0)
	v_cmp_neq_f64_e32 vcc, 0, v[5:6]
	v_cmp_neq_f64_e64 s[4:5], 0, v[7:8]
	v_and_or_b32 v13, s22, 63, v0
	v_lshlrev_b32_e32 v14, 2, v13
	ds_bpermute_b32 v15, v14, v1
	ds_bpermute_b32 v16, v14, v2
	;; [unrolled: 1-line block ×4, first 2 shown]
	s_or_b64 s[14:15], s[14:15], exec
	s_or_b64 s[26:27], vcc, s[4:5]
	s_and_saveexec_b64 s[4:5], s[26:27]
	s_cbranch_execz .LBB76_39
; %bb.38:
	v_mul_f64 v[19:20], v[7:8], v[7:8]
	s_andn2_b64 s[14:15], s[14:15], exec
	s_and_b64 s[20:21], s[20:21], exec
	s_or_b64 s[14:15], s[14:15], s[20:21]
	v_fma_f64 v[19:20], v[5:6], v[5:6], v[19:20]
	v_div_scale_f64 v[21:22], s[26:27], v[19:20], v[19:20], 1.0
	v_rcp_f64_e32 v[23:24], v[21:22]
	v_fma_f64 v[25:26], -v[21:22], v[23:24], 1.0
	v_fma_f64 v[23:24], v[23:24], v[25:26], v[23:24]
	v_div_scale_f64 v[25:26], vcc, 1.0, v[19:20], 1.0
	v_fma_f64 v[27:28], -v[21:22], v[23:24], 1.0
	v_fma_f64 v[23:24], v[23:24], v[27:28], v[23:24]
	v_mul_f64 v[27:28], v[25:26], v[23:24]
	v_fma_f64 v[21:22], -v[21:22], v[27:28], v[25:26]
	v_div_fmas_f64 v[21:22], v[21:22], v[23:24], v[27:28]
	s_waitcnt lgkmcnt(0)
	v_mul_f64 v[23:24], v[7:8], v[13:14]
	v_mul_f64 v[7:8], v[7:8], -v[15:16]
	v_fma_f64 v[15:16], v[15:16], v[5:6], v[23:24]
	v_fma_f64 v[5:6], v[13:14], v[5:6], v[7:8]
	v_div_fixup_f64 v[19:20], v[21:22], v[19:20], 1.0
	v_mul_f64 v[15:16], v[19:20], v[15:16]
	v_mul_f64 v[13:14], v[19:20], v[5:6]
.LBB76_39:
	s_or_b64 exec, exec, s[4:5]
	s_and_saveexec_b64 s[4:5], s[10:11]
	s_cbranch_execz .LBB76_45
; %bb.40:
	v_cmp_ge_u32_e32 vcc, s22, v12
	s_and_saveexec_b64 s[20:21], vcc
	s_xor_b64 s[20:21], exec, s[20:21]
	s_cbranch_execz .LBB76_42
; %bb.41:
	v_cmp_eq_u32_e32 vcc, s22, v12
	s_waitcnt lgkmcnt(2)
	v_cndmask_b32_e32 v2, v2, v16, vcc
	v_cndmask_b32_e32 v1, v1, v15, vcc
	s_waitcnt lgkmcnt(0)
	v_cndmask_b32_e32 v4, v4, v14, vcc
	v_cndmask_b32_e32 v3, v3, v13, vcc
                                        ; implicit-def: $vgpr15_vgpr16
                                        ; implicit-def: $vgpr13_vgpr14
.LBB76_42:
	s_andn2_saveexec_b64 s[20:21], s[20:21]
	s_cbranch_execz .LBB76_44
; %bb.43:
	ds_read_b128 v[5:8], v18
	s_waitcnt lgkmcnt(0)
	v_fma_f64 v[1:2], -v[15:16], v[5:6], v[1:2]
	v_fma_f64 v[3:4], -v[13:14], v[5:6], v[3:4]
	v_fma_f64 v[1:2], v[13:14], v[7:8], v[1:2]
	v_fma_f64 v[3:4], -v[15:16], v[7:8], v[3:4]
.LBB76_44:
	s_or_b64 exec, exec, s[20:21]
.LBB76_45:
	s_or_b64 exec, exec, s[4:5]
	s_add_i32 s22, s22, 1
	v_add_u32_e32 v18, 0x100, v18
	s_cmp_lg_u32 s33, s22
	v_add_u32_e32 v17, 0x110, v17
	s_cbranch_scc0 .LBB76_47
; %bb.46:
	s_mov_b64 s[20:21], s[14:15]
	s_and_b64 vcc, exec, s[6:7]
	s_cbranch_vccnz .LBB76_35
	s_branch .LBB76_36
.LBB76_47:
	s_and_b64 s[4:5], s[14:15], exec
	s_or_b64 exec, exec, s[8:9]
	s_and_saveexec_b64 s[6:7], s[10:11]
	s_cbranch_execz .LBB76_32
.LBB76_48:
	s_waitcnt lgkmcnt(0)
	v_mad_u64_u32 v[5:6], s[8:9], v9, s33, v[12:13]
	v_mov_b32_e32 v0, s17
	v_ashrrev_i32_e32 v6, 31, v5
	v_lshlrev_b64 v[5:6], 4, v[5:6]
	v_add_co_u32_e32 v5, vcc, s16, v5
	v_addc_co_u32_e32 v6, vcc, v0, v6, vcc
	global_store_dwordx4 v[5:6], v[1:4], off
	s_or_b64 exec, exec, s[6:7]
	v_cmp_eq_u32_e32 vcc, 0, v12
	s_and_b64 exec, exec, vcc
	s_cbranch_execz .LBB76_33
.LBB76_49:
	v_mov_b32_e32 v1, s19
	v_add_co_u32_e32 v0, vcc, s18, v10
	v_addc_co_u32_e32 v1, vcc, v1, v11, vcc
	v_mov_b32_e32 v2, 1
	s_waitcnt vmcnt(0) lgkmcnt(0)
	global_store_dword v[0:1], v2, off
	s_and_b64 exec, exec, s[4:5]
	s_cbranch_execz .LBB76_33
; %bb.50:
	s_mov_b64 s[4:5], exec
	v_add_u32_e32 v0, s12, v9
	s_brev_b32 s6, -2
.LBB76_51:                              ; =>This Inner Loop Header: Depth=1
	s_ff1_i32_b64 s7, s[4:5]
	v_readlane_b32 s10, v0, s7
	s_lshl_b64 s[8:9], 1, s7
	s_min_i32 s6, s6, s10
	s_andn2_b64 s[4:5], s[4:5], s[8:9]
	s_cmp_lg_u64 s[4:5], 0
	s_cbranch_scc1 .LBB76_51
; %bb.52:
	v_mbcnt_lo_u32_b32 v0, exec_lo, 0
	v_mbcnt_hi_u32_b32 v0, exec_hi, v0
	v_cmp_eq_u32_e32 vcc, 0, v0
	s_and_saveexec_b64 s[4:5], vcc
	s_xor_b64 s[4:5], exec, s[4:5]
	s_cbranch_execz .LBB76_33
; %bb.53:
	v_mov_b32_e32 v0, 0
	v_mov_b32_e32 v1, s6
	global_atomic_smin v0, v1, s[24:25]
	s_endpgm
	.section	.rodata,"a",@progbits
	.p2align	6, 0x0
	.amdhsa_kernel _ZN9rocsparseL18bsrsv_lower_sharedILj128ELj64ELi16ELb1E21rocsparse_complex_numIdEEEviNS_24const_host_device_scalarIT3_EEPKiS7_PKS4_iS9_PS4_PiSB_SB_21rocsparse_index_base_20rocsparse_diag_type_20rocsparse_direction_b
		.amdhsa_group_segment_fixed_size 8704
		.amdhsa_private_segment_fixed_size 16
		.amdhsa_kernarg_size 112
		.amdhsa_user_sgpr_count 8
		.amdhsa_user_sgpr_private_segment_buffer 1
		.amdhsa_user_sgpr_dispatch_ptr 0
		.amdhsa_user_sgpr_queue_ptr 0
		.amdhsa_user_sgpr_kernarg_segment_ptr 1
		.amdhsa_user_sgpr_dispatch_id 0
		.amdhsa_user_sgpr_flat_scratch_init 1
		.amdhsa_user_sgpr_private_segment_size 0
		.amdhsa_uses_dynamic_stack 0
		.amdhsa_system_sgpr_private_segment_wavefront_offset 1
		.amdhsa_system_sgpr_workgroup_id_x 1
		.amdhsa_system_sgpr_workgroup_id_y 0
		.amdhsa_system_sgpr_workgroup_id_z 0
		.amdhsa_system_sgpr_workgroup_info 0
		.amdhsa_system_vgpr_workitem_id 0
		.amdhsa_next_free_vgpr 49
		.amdhsa_next_free_sgpr 96
		.amdhsa_reserve_vcc 1
		.amdhsa_reserve_flat_scratch 1
		.amdhsa_float_round_mode_32 0
		.amdhsa_float_round_mode_16_64 0
		.amdhsa_float_denorm_mode_32 3
		.amdhsa_float_denorm_mode_16_64 3
		.amdhsa_dx10_clamp 1
		.amdhsa_ieee_mode 1
		.amdhsa_fp16_overflow 0
		.amdhsa_exception_fp_ieee_invalid_op 0
		.amdhsa_exception_fp_denorm_src 0
		.amdhsa_exception_fp_ieee_div_zero 0
		.amdhsa_exception_fp_ieee_overflow 0
		.amdhsa_exception_fp_ieee_underflow 0
		.amdhsa_exception_fp_ieee_inexact 0
		.amdhsa_exception_int_div_zero 0
	.end_amdhsa_kernel
	.section	.text._ZN9rocsparseL18bsrsv_lower_sharedILj128ELj64ELi16ELb1E21rocsparse_complex_numIdEEEviNS_24const_host_device_scalarIT3_EEPKiS7_PKS4_iS9_PS4_PiSB_SB_21rocsparse_index_base_20rocsparse_diag_type_20rocsparse_direction_b,"axG",@progbits,_ZN9rocsparseL18bsrsv_lower_sharedILj128ELj64ELi16ELb1E21rocsparse_complex_numIdEEEviNS_24const_host_device_scalarIT3_EEPKiS7_PKS4_iS9_PS4_PiSB_SB_21rocsparse_index_base_20rocsparse_diag_type_20rocsparse_direction_b,comdat
.Lfunc_end76:
	.size	_ZN9rocsparseL18bsrsv_lower_sharedILj128ELj64ELi16ELb1E21rocsparse_complex_numIdEEEviNS_24const_host_device_scalarIT3_EEPKiS7_PKS4_iS9_PS4_PiSB_SB_21rocsparse_index_base_20rocsparse_diag_type_20rocsparse_direction_b, .Lfunc_end76-_ZN9rocsparseL18bsrsv_lower_sharedILj128ELj64ELi16ELb1E21rocsparse_complex_numIdEEEviNS_24const_host_device_scalarIT3_EEPKiS7_PKS4_iS9_PS4_PiSB_SB_21rocsparse_index_base_20rocsparse_diag_type_20rocsparse_direction_b
                                        ; -- End function
	.set _ZN9rocsparseL18bsrsv_lower_sharedILj128ELj64ELi16ELb1E21rocsparse_complex_numIdEEEviNS_24const_host_device_scalarIT3_EEPKiS7_PKS4_iS9_PS4_PiSB_SB_21rocsparse_index_base_20rocsparse_diag_type_20rocsparse_direction_b.num_vgpr, 37
	.set _ZN9rocsparseL18bsrsv_lower_sharedILj128ELj64ELi16ELb1E21rocsparse_complex_numIdEEEviNS_24const_host_device_scalarIT3_EEPKiS7_PKS4_iS9_PS4_PiSB_SB_21rocsparse_index_base_20rocsparse_diag_type_20rocsparse_direction_b.num_agpr, 0
	.set _ZN9rocsparseL18bsrsv_lower_sharedILj128ELj64ELi16ELb1E21rocsparse_complex_numIdEEEviNS_24const_host_device_scalarIT3_EEPKiS7_PKS4_iS9_PS4_PiSB_SB_21rocsparse_index_base_20rocsparse_diag_type_20rocsparse_direction_b.numbered_sgpr, 39
	.set _ZN9rocsparseL18bsrsv_lower_sharedILj128ELj64ELi16ELb1E21rocsparse_complex_numIdEEEviNS_24const_host_device_scalarIT3_EEPKiS7_PKS4_iS9_PS4_PiSB_SB_21rocsparse_index_base_20rocsparse_diag_type_20rocsparse_direction_b.num_named_barrier, 0
	.set _ZN9rocsparseL18bsrsv_lower_sharedILj128ELj64ELi16ELb1E21rocsparse_complex_numIdEEEviNS_24const_host_device_scalarIT3_EEPKiS7_PKS4_iS9_PS4_PiSB_SB_21rocsparse_index_base_20rocsparse_diag_type_20rocsparse_direction_b.private_seg_size, 16
	.set _ZN9rocsparseL18bsrsv_lower_sharedILj128ELj64ELi16ELb1E21rocsparse_complex_numIdEEEviNS_24const_host_device_scalarIT3_EEPKiS7_PKS4_iS9_PS4_PiSB_SB_21rocsparse_index_base_20rocsparse_diag_type_20rocsparse_direction_b.uses_vcc, 1
	.set _ZN9rocsparseL18bsrsv_lower_sharedILj128ELj64ELi16ELb1E21rocsparse_complex_numIdEEEviNS_24const_host_device_scalarIT3_EEPKiS7_PKS4_iS9_PS4_PiSB_SB_21rocsparse_index_base_20rocsparse_diag_type_20rocsparse_direction_b.uses_flat_scratch, 1
	.set _ZN9rocsparseL18bsrsv_lower_sharedILj128ELj64ELi16ELb1E21rocsparse_complex_numIdEEEviNS_24const_host_device_scalarIT3_EEPKiS7_PKS4_iS9_PS4_PiSB_SB_21rocsparse_index_base_20rocsparse_diag_type_20rocsparse_direction_b.has_dyn_sized_stack, 0
	.set _ZN9rocsparseL18bsrsv_lower_sharedILj128ELj64ELi16ELb1E21rocsparse_complex_numIdEEEviNS_24const_host_device_scalarIT3_EEPKiS7_PKS4_iS9_PS4_PiSB_SB_21rocsparse_index_base_20rocsparse_diag_type_20rocsparse_direction_b.has_recursion, 0
	.set _ZN9rocsparseL18bsrsv_lower_sharedILj128ELj64ELi16ELb1E21rocsparse_complex_numIdEEEviNS_24const_host_device_scalarIT3_EEPKiS7_PKS4_iS9_PS4_PiSB_SB_21rocsparse_index_base_20rocsparse_diag_type_20rocsparse_direction_b.has_indirect_call, 0
	.section	.AMDGPU.csdata,"",@progbits
; Kernel info:
; codeLenInByte = 2704
; TotalNumSgprs: 45
; NumVgprs: 37
; ScratchSize: 16
; MemoryBound: 1
; FloatMode: 240
; IeeeMode: 1
; LDSByteSize: 8704 bytes/workgroup (compile time only)
; SGPRBlocks: 12
; VGPRBlocks: 12
; NumSGPRsForWavesPerEU: 102
; NumVGPRsForWavesPerEU: 49
; Occupancy: 4
; WaveLimiterHint : 1
; COMPUTE_PGM_RSRC2:SCRATCH_EN: 1
; COMPUTE_PGM_RSRC2:USER_SGPR: 8
; COMPUTE_PGM_RSRC2:TRAP_HANDLER: 0
; COMPUTE_PGM_RSRC2:TGID_X_EN: 1
; COMPUTE_PGM_RSRC2:TGID_Y_EN: 0
; COMPUTE_PGM_RSRC2:TGID_Z_EN: 0
; COMPUTE_PGM_RSRC2:TIDIG_COMP_CNT: 0
	.section	.text._ZN9rocsparseL18bsrsv_lower_sharedILj128ELj64ELi16ELb0E21rocsparse_complex_numIdEEEviNS_24const_host_device_scalarIT3_EEPKiS7_PKS4_iS9_PS4_PiSB_SB_21rocsparse_index_base_20rocsparse_diag_type_20rocsparse_direction_b,"axG",@progbits,_ZN9rocsparseL18bsrsv_lower_sharedILj128ELj64ELi16ELb0E21rocsparse_complex_numIdEEEviNS_24const_host_device_scalarIT3_EEPKiS7_PKS4_iS9_PS4_PiSB_SB_21rocsparse_index_base_20rocsparse_diag_type_20rocsparse_direction_b,comdat
	.globl	_ZN9rocsparseL18bsrsv_lower_sharedILj128ELj64ELi16ELb0E21rocsparse_complex_numIdEEEviNS_24const_host_device_scalarIT3_EEPKiS7_PKS4_iS9_PS4_PiSB_SB_21rocsparse_index_base_20rocsparse_diag_type_20rocsparse_direction_b ; -- Begin function _ZN9rocsparseL18bsrsv_lower_sharedILj128ELj64ELi16ELb0E21rocsparse_complex_numIdEEEviNS_24const_host_device_scalarIT3_EEPKiS7_PKS4_iS9_PS4_PiSB_SB_21rocsparse_index_base_20rocsparse_diag_type_20rocsparse_direction_b
	.p2align	8
	.type	_ZN9rocsparseL18bsrsv_lower_sharedILj128ELj64ELi16ELb0E21rocsparse_complex_numIdEEEviNS_24const_host_device_scalarIT3_EEPKiS7_PKS4_iS9_PS4_PiSB_SB_21rocsparse_index_base_20rocsparse_diag_type_20rocsparse_direction_b,@function
_ZN9rocsparseL18bsrsv_lower_sharedILj128ELj64ELi16ELb0E21rocsparse_complex_numIdEEEviNS_24const_host_device_scalarIT3_EEPKiS7_PKS4_iS9_PS4_PiSB_SB_21rocsparse_index_base_20rocsparse_diag_type_20rocsparse_direction_b: ; @_ZN9rocsparseL18bsrsv_lower_sharedILj128ELj64ELi16ELb0E21rocsparse_complex_numIdEEEviNS_24const_host_device_scalarIT3_EEPKiS7_PKS4_iS9_PS4_PiSB_SB_21rocsparse_index_base_20rocsparse_diag_type_20rocsparse_direction_b
; %bb.0:
	s_add_u32 flat_scratch_lo, s6, s9
	s_load_dwordx4 s[12:15], s[4:5], 0x60
	s_load_dwordx4 s[16:19], s[4:5], 0x8
	s_addc_u32 flat_scratch_hi, s7, 0
	s_add_u32 s0, s0, s9
	s_addc_u32 s1, s1, 0
	s_waitcnt lgkmcnt(0)
	s_bitcmp1_b32 s15, 0
	s_cselect_b64 s[10:11], -1, 0
	s_mov_b64 s[6:7], src_private_base
	v_mov_b32_e32 v1, s17
	s_and_b64 vcc, s[10:11], exec
	buffer_store_dword v1, off, s[0:3], 0 offset:4
	v_mov_b32_e32 v1, s16
	s_cselect_b32 s6, s7, s17
	s_cselect_b32 s7, 0, s16
	buffer_store_dword v1, off, s[0:3], 0
	v_mov_b32_e32 v1, s7
	v_mov_b32_e32 v2, s6
	flat_load_dwordx2 v[1:2], v[1:2]
	v_mov_b32_e32 v7, s18
	v_mov_b32_e32 v8, s19
	s_cbranch_vccnz .LBB77_2
; %bb.1:
	v_mov_b32_e32 v3, s16
	v_mov_b32_e32 v4, s17
	flat_load_dwordx2 v[7:8], v[3:4] offset:8
.LBB77_2:
	s_load_dword s9, s[4:5], 0x0
	s_lshl_b32 s6, s8, 1
	v_lshrrev_b32_e32 v13, 6, v0
	s_and_b32 s6, s6, 0x3fffffe
	v_or_b32_e32 v3, s6, v13
	s_waitcnt lgkmcnt(0)
	v_cmp_gt_i32_e32 vcc, s9, v3
	s_and_saveexec_b64 s[6:7], vcc
	s_cbranch_execz .LBB77_31
; %bb.3:
	s_load_dwordx2 s[6:7], s[4:5], 0x50
	s_load_dwordx4 s[16:19], s[4:5], 0x40
	v_lshlrev_b32_e32 v3, 2, v3
	v_and_b32_e32 v12, 63, v0
	v_mov_b32_e32 v5, 0
	s_waitcnt lgkmcnt(0)
	global_load_dword v9, v3, s[6:7]
	s_load_dwordx2 s[6:7], s[4:5], 0x18
	s_load_dword s33, s[4:5], 0x30
	v_mov_b32_e32 v6, 0
	s_waitcnt lgkmcnt(0)
	v_mov_b32_e32 v4, s7
	v_cmp_gt_i32_e64 s[10:11], s33, v12
	s_waitcnt vmcnt(0)
	v_ashrrev_i32_e32 v10, 31, v9
	v_lshlrev_b64 v[10:11], 2, v[9:10]
	v_add_co_u32_e32 v3, vcc, s6, v10
	v_addc_co_u32_e32 v4, vcc, v4, v11, vcc
	global_load_dwordx2 v[15:16], v[3:4], off
	v_mov_b32_e32 v3, 0
	v_mov_b32_e32 v4, 0
	s_and_saveexec_b64 s[6:7], s[10:11]
	s_cbranch_execz .LBB77_5
; %bb.4:
	v_mad_u64_u32 v[3:4], s[20:21], v9, s33, v[12:13]
	s_load_dwordx2 s[20:21], s[4:5], 0x38
	v_ashrrev_i32_e32 v4, 31, v3
	v_lshlrev_b64 v[3:4], 4, v[3:4]
	s_waitcnt lgkmcnt(0)
	v_mov_b32_e32 v5, s21
	v_add_co_u32_e32 v3, vcc, s20, v3
	v_addc_co_u32_e32 v4, vcc, v5, v4, vcc
	global_load_dwordx4 v[3:6], v[3:4], off
.LBB77_5:
	s_or_b64 exec, exec, s[6:7]
	s_waitcnt vmcnt(0)
	v_mul_f64 v[17:18], v[5:6], -v[7:8]
	v_mul_f64 v[5:6], v[1:2], v[5:6]
	s_load_dwordx2 s[24:25], s[4:5], 0x58
	v_cmp_lt_i32_e32 vcc, v15, v16
	v_mov_b32_e32 v14, s9
	v_fma_f64 v[1:2], v[1:2], v[3:4], v[17:18]
	v_fma_f64 v[3:4], v[7:8], v[3:4], v[5:6]
	v_lshlrev_b32_e32 v17, 12, v13
	s_and_saveexec_b64 s[26:27], vcc
	s_cbranch_execz .LBB77_28
; %bb.6:
	v_mov_b32_e32 v5, 0x2000
	v_lshl_or_b32 v18, v13, 8, v5
	v_subrev_u32_e32 v13, s12, v15
	v_and_b32_e32 v0, 15, v0
	s_load_dwordx4 s[20:23], s[4:5], 0x20
	v_mad_u64_u32 v[5:6], s[4:5], s33, v13, v[0:1]
	v_lshrrev_b32_e32 v19, 4, v12
	v_lshlrev_b32_e32 v6, 4, v12
	v_mul_lo_u32 v22, s33, v5
	s_cmp_lg_u32 s14, 0
	v_add_u32_e32 v20, v18, v6
	v_add_u32_e32 v21, v17, v6
	v_lshlrev_b32_e32 v5, 8, v19
	v_lshlrev_b32_e32 v6, 4, v0
	v_subrev_u32_e32 v16, s12, v16
	v_cmp_gt_i32_e64 s[6:7], s33, v0
	s_cselect_b64 s[14:15], -1, 0
	v_cmp_gt_u32_e64 s[8:9], 16, v12
	s_mul_i32 s38, s33, s33
	v_add3_u32 v23, v17, v5, v6
	s_mov_b64 s[28:29], 0
	s_waitcnt lgkmcnt(0)
	v_mov_b32_e32 v24, s21
	s_branch .LBB77_9
.LBB77_7:                               ;   in Loop: Header=BB77_9 Depth=1
	s_or_b64 exec, exec, s[4:5]
.LBB77_8:                               ;   in Loop: Header=BB77_9 Depth=1
	s_or_b64 exec, exec, s[30:31]
	v_add_u32_e32 v13, 1, v13
	v_cmp_ge_i32_e64 s[4:5], v13, v16
	s_xor_b64 s[30:31], vcc, -1
	s_or_b64 s[4:5], s[30:31], s[4:5]
	s_and_b64 s[4:5], exec, s[4:5]
	s_or_b64 s[28:29], s[4:5], s[28:29]
	v_add_u32_e32 v22, s38, v22
	s_andn2_b64 exec, exec, s[28:29]
	s_cbranch_execz .LBB77_27
.LBB77_9:                               ; =>This Loop Header: Depth=1
                                        ;     Child Loop BB77_12 Depth 2
                                        ;     Child Loop BB77_20 Depth 2
	v_ashrrev_i32_e32 v14, 31, v13
	v_lshlrev_b64 v[5:6], 2, v[13:14]
	v_mul_lo_u32 v15, v13, s33
	v_add_co_u32_e32 v5, vcc, s20, v5
	v_addc_co_u32_e32 v6, vcc, v24, v6, vcc
	global_load_dword v14, v[5:6], off
	s_mov_b64 s[4:5], 0
	v_mov_b32_e32 v25, v23
	v_mov_b32_e32 v26, v19
	s_branch .LBB77_12
.LBB77_10:                              ;   in Loop: Header=BB77_12 Depth=2
	v_ashrrev_i32_e32 v6, 31, v5
	v_lshlrev_b64 v[5:6], 4, v[5:6]
	v_mov_b32_e32 v7, s23
	v_add_co_u32_e32 v5, vcc, s22, v5
	v_addc_co_u32_e32 v6, vcc, v7, v6, vcc
	global_load_dwordx4 v[5:8], v[5:6], off
.LBB77_11:                              ;   in Loop: Header=BB77_12 Depth=2
	s_or_b64 exec, exec, s[30:31]
	s_waitcnt vmcnt(0)
	ds_write_b128 v25, v[5:8]
	v_add_u32_e32 v5, 4, v26
	v_cmp_lt_u32_e32 vcc, 11, v26
	v_add_u32_e32 v25, 0x400, v25
	s_or_b64 s[4:5], vcc, s[4:5]
	v_mov_b32_e32 v26, v5
	s_andn2_b64 exec, exec, s[4:5]
	s_cbranch_execz .LBB77_17
.LBB77_12:                              ;   Parent Loop BB77_9 Depth=1
                                        ; =>  This Inner Loop Header: Depth=2
	v_cmp_gt_i32_e32 vcc, s33, v26
	v_mov_b32_e32 v5, 0
	v_mov_b32_e32 v7, 0
	;; [unrolled: 1-line block ×4, first 2 shown]
	s_and_b64 s[34:35], s[6:7], vcc
	s_and_saveexec_b64 s[30:31], s[34:35]
	s_cbranch_execz .LBB77_11
; %bb.13:                               ;   in Loop: Header=BB77_12 Depth=2
	s_and_b64 vcc, exec, s[14:15]
	s_cbranch_vccz .LBB77_15
; %bb.14:                               ;   in Loop: Header=BB77_12 Depth=2
	v_add_u32_e32 v5, v26, v15
	v_mad_u64_u32 v[5:6], s[34:35], v5, s33, v[0:1]
	s_cbranch_execnz .LBB77_10
	s_branch .LBB77_16
.LBB77_15:                              ;   in Loop: Header=BB77_12 Depth=2
                                        ; implicit-def: $vgpr5
.LBB77_16:                              ;   in Loop: Header=BB77_12 Depth=2
	v_add_u32_e32 v5, v22, v26
	s_branch .LBB77_10
.LBB77_17:                              ;   in Loop: Header=BB77_9 Depth=1
	s_or_b64 exec, exec, s[4:5]
	v_subrev_u32_e32 v14, s12, v14
	v_cmp_lt_i32_e32 vcc, v14, v9
	s_and_saveexec_b64 s[30:31], vcc
	s_cbranch_execz .LBB77_8
; %bb.18:                               ;   in Loop: Header=BB77_9 Depth=1
	v_ashrrev_i32_e32 v15, 31, v14
	v_lshlrev_b64 v[5:6], 2, v[14:15]
	v_mov_b32_e32 v7, s19
	v_add_co_u32_e64 v5, s[4:5], s18, v5
	v_addc_co_u32_e64 v6, s[4:5], v7, v6, s[4:5]
	global_load_dword v7, v[5:6], off glc
	s_waitcnt vmcnt(0)
	v_cmp_eq_u32_e64 s[4:5], 0, v7
	s_and_saveexec_b64 s[34:35], s[4:5]
	s_cbranch_execz .LBB77_21
; %bb.19:                               ;   in Loop: Header=BB77_9 Depth=1
	s_mov_b64 s[36:37], 0
.LBB77_20:                              ;   Parent Loop BB77_9 Depth=1
                                        ; =>  This Inner Loop Header: Depth=2
	global_load_dword v7, v[5:6], off glc
	s_waitcnt vmcnt(0)
	v_cmp_ne_u32_e64 s[4:5], 0, v7
	s_or_b64 s[36:37], s[4:5], s[36:37]
	s_andn2_b64 exec, exec, s[36:37]
	s_cbranch_execnz .LBB77_20
.LBB77_21:                              ;   in Loop: Header=BB77_9 Depth=1
	s_or_b64 exec, exec, s[34:35]
	s_waitcnt lgkmcnt(0)
	buffer_wbinvl1_vol
	s_and_saveexec_b64 s[34:35], s[8:9]
	s_cbranch_execz .LBB77_25
; %bb.22:                               ;   in Loop: Header=BB77_9 Depth=1
	v_mov_b32_e32 v7, 0
	v_mov_b32_e32 v5, 0
	;; [unrolled: 1-line block ×4, first 2 shown]
	s_and_saveexec_b64 s[36:37], s[10:11]
	s_cbranch_execz .LBB77_24
; %bb.23:                               ;   in Loop: Header=BB77_9 Depth=1
	v_mad_u64_u32 v[5:6], s[4:5], v14, s33, v[12:13]
	v_mov_b32_e32 v7, s17
	v_ashrrev_i32_e32 v6, 31, v5
	v_lshlrev_b64 v[5:6], 4, v[5:6]
	v_add_co_u32_e64 v5, s[4:5], s16, v5
	v_addc_co_u32_e64 v6, s[4:5], v7, v6, s[4:5]
	global_load_dwordx4 v[5:8], v[5:6], off
.LBB77_24:                              ;   in Loop: Header=BB77_9 Depth=1
	s_or_b64 exec, exec, s[36:37]
	s_waitcnt vmcnt(0)
	ds_write_b128 v20, v[5:8]
.LBB77_25:                              ;   in Loop: Header=BB77_9 Depth=1
	s_or_b64 exec, exec, s[34:35]
	s_waitcnt lgkmcnt(0)
	s_and_saveexec_b64 s[4:5], s[10:11]
	s_cbranch_execz .LBB77_7
; %bb.26:                               ;   in Loop: Header=BB77_9 Depth=1
	ds_read_b128 v[5:8], v21
	ds_read_b128 v[25:28], v18
	ds_read_b128 v[29:32], v18 offset:16
	ds_read_b128 v[33:36], v21 offset:256
	s_waitcnt lgkmcnt(2)
	v_fma_f64 v[1:2], -v[5:6], v[25:26], v[1:2]
	v_fma_f64 v[3:4], -v[7:8], v[25:26], v[3:4]
	v_fma_f64 v[1:2], v[7:8], v[27:28], v[1:2]
	v_fma_f64 v[3:4], -v[5:6], v[27:28], v[3:4]
	s_waitcnt lgkmcnt(0)
	v_fma_f64 v[1:2], -v[33:34], v[29:30], v[1:2]
	v_fma_f64 v[3:4], -v[35:36], v[29:30], v[3:4]
	v_fma_f64 v[35:36], v[35:36], v[31:32], v[1:2]
	v_fma_f64 v[33:34], -v[33:34], v[31:32], v[3:4]
	ds_read_b128 v[1:4], v21 offset:512
	ds_read_b128 v[5:8], v18 offset:32
	ds_read_b128 v[25:28], v18 offset:48
	ds_read_b128 v[29:32], v21 offset:768
	s_waitcnt lgkmcnt(2)
	v_fma_f64 v[35:36], -v[1:2], v[5:6], v[35:36]
	v_fma_f64 v[5:6], -v[3:4], v[5:6], v[33:34]
	v_fma_f64 v[3:4], v[3:4], v[7:8], v[35:36]
	v_fma_f64 v[1:2], -v[1:2], v[7:8], v[5:6]
	s_waitcnt lgkmcnt(0)
	v_fma_f64 v[3:4], -v[29:30], v[25:26], v[3:4]
	v_fma_f64 v[1:2], -v[31:32], v[25:26], v[1:2]
	v_fma_f64 v[33:34], v[31:32], v[27:28], v[3:4]
	v_fma_f64 v[35:36], -v[29:30], v[27:28], v[1:2]
	ds_read_b128 v[1:4], v18 offset:64
	ds_read_b128 v[5:8], v21 offset:1024
	;; [unrolled: 14-line block ×7, first 2 shown]
	ds_read_b128 v[25:28], v21 offset:3840
	ds_read_b128 v[29:32], v18 offset:240
	s_waitcnt lgkmcnt(2)
	v_fma_f64 v[33:34], -v[5:6], v[1:2], v[33:34]
	v_fma_f64 v[1:2], -v[7:8], v[1:2], v[35:36]
	v_fma_f64 v[7:8], v[7:8], v[3:4], v[33:34]
	v_fma_f64 v[1:2], -v[5:6], v[3:4], v[1:2]
	s_waitcnt lgkmcnt(0)
	v_fma_f64 v[3:4], -v[25:26], v[29:30], v[7:8]
	v_fma_f64 v[5:6], -v[27:28], v[29:30], v[1:2]
	v_fma_f64 v[1:2], v[27:28], v[31:32], v[3:4]
	v_fma_f64 v[3:4], -v[25:26], v[31:32], v[5:6]
	s_branch .LBB77_7
.LBB77_27:
	s_or_b64 exec, exec, s[28:29]
.LBB77_28:
	s_or_b64 exec, exec, s[26:27]
	s_cmp_gt_i32 s33, 0
	v_cmp_eq_u32_e32 vcc, v14, v9
	s_cselect_b64 s[4:5], -1, 0
	s_mov_b32 s22, 0
	s_and_b64 s[6:7], s[4:5], vcc
	s_mov_b64 s[4:5], 0
	s_and_saveexec_b64 s[8:9], s[6:7]
	s_cbranch_execnz .LBB77_32
; %bb.29:
	s_or_b64 exec, exec, s[8:9]
	s_and_saveexec_b64 s[6:7], s[10:11]
	s_cbranch_execnz .LBB77_46
.LBB77_30:
	s_or_b64 exec, exec, s[6:7]
	v_cmp_eq_u32_e32 vcc, 0, v12
	s_and_b64 exec, exec, vcc
	s_cbranch_execnz .LBB77_47
.LBB77_31:
	s_endpgm
.LBB77_32:
	s_cmp_eq_u32 s13, 0
	v_mbcnt_lo_u32_b32 v0, -1, 0
	s_cselect_b64 s[4:5], -1, 0
	v_mbcnt_hi_u32_b32 v0, -1, v0
	v_cndmask_b32_e64 v5, 0, 1, s[4:5]
	v_and_b32_e32 v0, 64, v0
	v_lshl_add_u32 v18, v12, 4, v17
	s_mov_b64 s[20:21], 0
	v_cmp_ne_u32_e64 s[6:7], 1, v5
                                        ; implicit-def: $sgpr14_sgpr15
	s_and_b64 vcc, exec, s[6:7]
	s_cbranch_vccz .LBB77_34
.LBB77_33:
	v_mov_b32_e32 v5, 0
	v_mov_b32_e32 v7, 0
	;; [unrolled: 1-line block ×4, first 2 shown]
	s_branch .LBB77_35
.LBB77_34:
	ds_read_b128 v[5:8], v17
.LBB77_35:
	s_waitcnt lgkmcnt(0)
	v_cmp_neq_f64_e32 vcc, 0, v[5:6]
	v_cmp_neq_f64_e64 s[4:5], 0, v[7:8]
	v_and_or_b32 v13, s22, 63, v0
	v_lshlrev_b32_e32 v14, 2, v13
	ds_bpermute_b32 v15, v14, v1
	ds_bpermute_b32 v16, v14, v2
	;; [unrolled: 1-line block ×4, first 2 shown]
	s_or_b64 s[14:15], s[14:15], exec
	s_or_b64 s[26:27], vcc, s[4:5]
	s_and_saveexec_b64 s[4:5], s[26:27]
	s_cbranch_execz .LBB77_37
; %bb.36:
	v_mul_f64 v[19:20], v[7:8], v[7:8]
	s_andn2_b64 s[14:15], s[14:15], exec
	s_and_b64 s[20:21], s[20:21], exec
	s_or_b64 s[14:15], s[14:15], s[20:21]
	v_fma_f64 v[19:20], v[5:6], v[5:6], v[19:20]
	v_div_scale_f64 v[21:22], s[26:27], v[19:20], v[19:20], 1.0
	v_rcp_f64_e32 v[23:24], v[21:22]
	v_fma_f64 v[25:26], -v[21:22], v[23:24], 1.0
	v_fma_f64 v[23:24], v[23:24], v[25:26], v[23:24]
	v_div_scale_f64 v[25:26], vcc, 1.0, v[19:20], 1.0
	v_fma_f64 v[27:28], -v[21:22], v[23:24], 1.0
	v_fma_f64 v[23:24], v[23:24], v[27:28], v[23:24]
	v_mul_f64 v[27:28], v[25:26], v[23:24]
	v_fma_f64 v[21:22], -v[21:22], v[27:28], v[25:26]
	v_div_fmas_f64 v[21:22], v[21:22], v[23:24], v[27:28]
	s_waitcnt lgkmcnt(0)
	v_mul_f64 v[23:24], v[7:8], v[13:14]
	v_mul_f64 v[7:8], v[7:8], -v[15:16]
	v_fma_f64 v[15:16], v[15:16], v[5:6], v[23:24]
	v_fma_f64 v[5:6], v[13:14], v[5:6], v[7:8]
	v_div_fixup_f64 v[19:20], v[21:22], v[19:20], 1.0
	v_mul_f64 v[15:16], v[19:20], v[15:16]
	v_mul_f64 v[13:14], v[19:20], v[5:6]
.LBB77_37:
	s_or_b64 exec, exec, s[4:5]
	s_and_saveexec_b64 s[4:5], s[10:11]
	s_cbranch_execz .LBB77_43
; %bb.38:
	v_cmp_ge_u32_e32 vcc, s22, v12
	s_and_saveexec_b64 s[20:21], vcc
	s_xor_b64 s[20:21], exec, s[20:21]
	s_cbranch_execz .LBB77_40
; %bb.39:
	v_cmp_eq_u32_e32 vcc, s22, v12
	s_waitcnt lgkmcnt(2)
	v_cndmask_b32_e32 v2, v2, v16, vcc
	v_cndmask_b32_e32 v1, v1, v15, vcc
	s_waitcnt lgkmcnt(0)
	v_cndmask_b32_e32 v4, v4, v14, vcc
	v_cndmask_b32_e32 v3, v3, v13, vcc
                                        ; implicit-def: $vgpr15_vgpr16
                                        ; implicit-def: $vgpr13_vgpr14
.LBB77_40:
	s_andn2_saveexec_b64 s[20:21], s[20:21]
	s_cbranch_execz .LBB77_42
; %bb.41:
	ds_read_b128 v[5:8], v18
	s_waitcnt lgkmcnt(0)
	v_fma_f64 v[1:2], -v[15:16], v[5:6], v[1:2]
	v_fma_f64 v[3:4], -v[13:14], v[5:6], v[3:4]
	v_fma_f64 v[1:2], v[13:14], v[7:8], v[1:2]
	v_fma_f64 v[3:4], -v[15:16], v[7:8], v[3:4]
.LBB77_42:
	s_or_b64 exec, exec, s[20:21]
.LBB77_43:
	s_or_b64 exec, exec, s[4:5]
	s_add_i32 s22, s22, 1
	v_add_u32_e32 v18, 0x100, v18
	s_cmp_lg_u32 s33, s22
	v_add_u32_e32 v17, 0x110, v17
	s_cbranch_scc0 .LBB77_45
; %bb.44:
	s_mov_b64 s[20:21], s[14:15]
	s_and_b64 vcc, exec, s[6:7]
	s_cbranch_vccnz .LBB77_33
	s_branch .LBB77_34
.LBB77_45:
	s_and_b64 s[4:5], s[14:15], exec
	s_or_b64 exec, exec, s[8:9]
	s_and_saveexec_b64 s[6:7], s[10:11]
	s_cbranch_execz .LBB77_30
.LBB77_46:
	s_waitcnt lgkmcnt(0)
	v_mad_u64_u32 v[5:6], s[8:9], v9, s33, v[12:13]
	v_mov_b32_e32 v0, s17
	v_ashrrev_i32_e32 v6, 31, v5
	v_lshlrev_b64 v[5:6], 4, v[5:6]
	v_add_co_u32_e32 v5, vcc, s16, v5
	v_addc_co_u32_e32 v6, vcc, v0, v6, vcc
	global_store_dwordx4 v[5:6], v[1:4], off
	s_or_b64 exec, exec, s[6:7]
	v_cmp_eq_u32_e32 vcc, 0, v12
	s_and_b64 exec, exec, vcc
	s_cbranch_execz .LBB77_31
.LBB77_47:
	v_mov_b32_e32 v1, s19
	v_add_co_u32_e32 v0, vcc, s18, v10
	v_addc_co_u32_e32 v1, vcc, v1, v11, vcc
	v_mov_b32_e32 v2, 1
	s_waitcnt vmcnt(0) lgkmcnt(0)
	global_store_dword v[0:1], v2, off
	s_and_b64 exec, exec, s[4:5]
	s_cbranch_execz .LBB77_31
; %bb.48:
	s_mov_b64 s[4:5], exec
	v_add_u32_e32 v0, s12, v9
	s_brev_b32 s6, -2
.LBB77_49:                              ; =>This Inner Loop Header: Depth=1
	s_ff1_i32_b64 s7, s[4:5]
	v_readlane_b32 s10, v0, s7
	s_lshl_b64 s[8:9], 1, s7
	s_min_i32 s6, s6, s10
	s_andn2_b64 s[4:5], s[4:5], s[8:9]
	s_cmp_lg_u64 s[4:5], 0
	s_cbranch_scc1 .LBB77_49
; %bb.50:
	v_mbcnt_lo_u32_b32 v0, exec_lo, 0
	v_mbcnt_hi_u32_b32 v0, exec_hi, v0
	v_cmp_eq_u32_e32 vcc, 0, v0
	s_and_saveexec_b64 s[4:5], vcc
	s_xor_b64 s[4:5], exec, s[4:5]
	s_cbranch_execz .LBB77_31
; %bb.51:
	v_mov_b32_e32 v0, 0
	v_mov_b32_e32 v1, s6
	global_atomic_smin v0, v1, s[24:25]
	s_endpgm
	.section	.rodata,"a",@progbits
	.p2align	6, 0x0
	.amdhsa_kernel _ZN9rocsparseL18bsrsv_lower_sharedILj128ELj64ELi16ELb0E21rocsparse_complex_numIdEEEviNS_24const_host_device_scalarIT3_EEPKiS7_PKS4_iS9_PS4_PiSB_SB_21rocsparse_index_base_20rocsparse_diag_type_20rocsparse_direction_b
		.amdhsa_group_segment_fixed_size 8704
		.amdhsa_private_segment_fixed_size 16
		.amdhsa_kernarg_size 112
		.amdhsa_user_sgpr_count 8
		.amdhsa_user_sgpr_private_segment_buffer 1
		.amdhsa_user_sgpr_dispatch_ptr 0
		.amdhsa_user_sgpr_queue_ptr 0
		.amdhsa_user_sgpr_kernarg_segment_ptr 1
		.amdhsa_user_sgpr_dispatch_id 0
		.amdhsa_user_sgpr_flat_scratch_init 1
		.amdhsa_user_sgpr_private_segment_size 0
		.amdhsa_uses_dynamic_stack 0
		.amdhsa_system_sgpr_private_segment_wavefront_offset 1
		.amdhsa_system_sgpr_workgroup_id_x 1
		.amdhsa_system_sgpr_workgroup_id_y 0
		.amdhsa_system_sgpr_workgroup_id_z 0
		.amdhsa_system_sgpr_workgroup_info 0
		.amdhsa_system_vgpr_workitem_id 0
		.amdhsa_next_free_vgpr 49
		.amdhsa_next_free_sgpr 96
		.amdhsa_reserve_vcc 1
		.amdhsa_reserve_flat_scratch 1
		.amdhsa_float_round_mode_32 0
		.amdhsa_float_round_mode_16_64 0
		.amdhsa_float_denorm_mode_32 3
		.amdhsa_float_denorm_mode_16_64 3
		.amdhsa_dx10_clamp 1
		.amdhsa_ieee_mode 1
		.amdhsa_fp16_overflow 0
		.amdhsa_exception_fp_ieee_invalid_op 0
		.amdhsa_exception_fp_denorm_src 0
		.amdhsa_exception_fp_ieee_div_zero 0
		.amdhsa_exception_fp_ieee_overflow 0
		.amdhsa_exception_fp_ieee_underflow 0
		.amdhsa_exception_fp_ieee_inexact 0
		.amdhsa_exception_int_div_zero 0
	.end_amdhsa_kernel
	.section	.text._ZN9rocsparseL18bsrsv_lower_sharedILj128ELj64ELi16ELb0E21rocsparse_complex_numIdEEEviNS_24const_host_device_scalarIT3_EEPKiS7_PKS4_iS9_PS4_PiSB_SB_21rocsparse_index_base_20rocsparse_diag_type_20rocsparse_direction_b,"axG",@progbits,_ZN9rocsparseL18bsrsv_lower_sharedILj128ELj64ELi16ELb0E21rocsparse_complex_numIdEEEviNS_24const_host_device_scalarIT3_EEPKiS7_PKS4_iS9_PS4_PiSB_SB_21rocsparse_index_base_20rocsparse_diag_type_20rocsparse_direction_b,comdat
.Lfunc_end77:
	.size	_ZN9rocsparseL18bsrsv_lower_sharedILj128ELj64ELi16ELb0E21rocsparse_complex_numIdEEEviNS_24const_host_device_scalarIT3_EEPKiS7_PKS4_iS9_PS4_PiSB_SB_21rocsparse_index_base_20rocsparse_diag_type_20rocsparse_direction_b, .Lfunc_end77-_ZN9rocsparseL18bsrsv_lower_sharedILj128ELj64ELi16ELb0E21rocsparse_complex_numIdEEEviNS_24const_host_device_scalarIT3_EEPKiS7_PKS4_iS9_PS4_PiSB_SB_21rocsparse_index_base_20rocsparse_diag_type_20rocsparse_direction_b
                                        ; -- End function
	.set _ZN9rocsparseL18bsrsv_lower_sharedILj128ELj64ELi16ELb0E21rocsparse_complex_numIdEEEviNS_24const_host_device_scalarIT3_EEPKiS7_PKS4_iS9_PS4_PiSB_SB_21rocsparse_index_base_20rocsparse_diag_type_20rocsparse_direction_b.num_vgpr, 37
	.set _ZN9rocsparseL18bsrsv_lower_sharedILj128ELj64ELi16ELb0E21rocsparse_complex_numIdEEEviNS_24const_host_device_scalarIT3_EEPKiS7_PKS4_iS9_PS4_PiSB_SB_21rocsparse_index_base_20rocsparse_diag_type_20rocsparse_direction_b.num_agpr, 0
	.set _ZN9rocsparseL18bsrsv_lower_sharedILj128ELj64ELi16ELb0E21rocsparse_complex_numIdEEEviNS_24const_host_device_scalarIT3_EEPKiS7_PKS4_iS9_PS4_PiSB_SB_21rocsparse_index_base_20rocsparse_diag_type_20rocsparse_direction_b.numbered_sgpr, 39
	.set _ZN9rocsparseL18bsrsv_lower_sharedILj128ELj64ELi16ELb0E21rocsparse_complex_numIdEEEviNS_24const_host_device_scalarIT3_EEPKiS7_PKS4_iS9_PS4_PiSB_SB_21rocsparse_index_base_20rocsparse_diag_type_20rocsparse_direction_b.num_named_barrier, 0
	.set _ZN9rocsparseL18bsrsv_lower_sharedILj128ELj64ELi16ELb0E21rocsparse_complex_numIdEEEviNS_24const_host_device_scalarIT3_EEPKiS7_PKS4_iS9_PS4_PiSB_SB_21rocsparse_index_base_20rocsparse_diag_type_20rocsparse_direction_b.private_seg_size, 16
	.set _ZN9rocsparseL18bsrsv_lower_sharedILj128ELj64ELi16ELb0E21rocsparse_complex_numIdEEEviNS_24const_host_device_scalarIT3_EEPKiS7_PKS4_iS9_PS4_PiSB_SB_21rocsparse_index_base_20rocsparse_diag_type_20rocsparse_direction_b.uses_vcc, 1
	.set _ZN9rocsparseL18bsrsv_lower_sharedILj128ELj64ELi16ELb0E21rocsparse_complex_numIdEEEviNS_24const_host_device_scalarIT3_EEPKiS7_PKS4_iS9_PS4_PiSB_SB_21rocsparse_index_base_20rocsparse_diag_type_20rocsparse_direction_b.uses_flat_scratch, 1
	.set _ZN9rocsparseL18bsrsv_lower_sharedILj128ELj64ELi16ELb0E21rocsparse_complex_numIdEEEviNS_24const_host_device_scalarIT3_EEPKiS7_PKS4_iS9_PS4_PiSB_SB_21rocsparse_index_base_20rocsparse_diag_type_20rocsparse_direction_b.has_dyn_sized_stack, 0
	.set _ZN9rocsparseL18bsrsv_lower_sharedILj128ELj64ELi16ELb0E21rocsparse_complex_numIdEEEviNS_24const_host_device_scalarIT3_EEPKiS7_PKS4_iS9_PS4_PiSB_SB_21rocsparse_index_base_20rocsparse_diag_type_20rocsparse_direction_b.has_recursion, 0
	.set _ZN9rocsparseL18bsrsv_lower_sharedILj128ELj64ELi16ELb0E21rocsparse_complex_numIdEEEviNS_24const_host_device_scalarIT3_EEPKiS7_PKS4_iS9_PS4_PiSB_SB_21rocsparse_index_base_20rocsparse_diag_type_20rocsparse_direction_b.has_indirect_call, 0
	.section	.AMDGPU.csdata,"",@progbits
; Kernel info:
; codeLenInByte = 2648
; TotalNumSgprs: 45
; NumVgprs: 37
; ScratchSize: 16
; MemoryBound: 1
; FloatMode: 240
; IeeeMode: 1
; LDSByteSize: 8704 bytes/workgroup (compile time only)
; SGPRBlocks: 12
; VGPRBlocks: 12
; NumSGPRsForWavesPerEU: 102
; NumVGPRsForWavesPerEU: 49
; Occupancy: 4
; WaveLimiterHint : 1
; COMPUTE_PGM_RSRC2:SCRATCH_EN: 1
; COMPUTE_PGM_RSRC2:USER_SGPR: 8
; COMPUTE_PGM_RSRC2:TRAP_HANDLER: 0
; COMPUTE_PGM_RSRC2:TGID_X_EN: 1
; COMPUTE_PGM_RSRC2:TGID_Y_EN: 0
; COMPUTE_PGM_RSRC2:TGID_Z_EN: 0
; COMPUTE_PGM_RSRC2:TIDIG_COMP_CNT: 0
	.section	.text._ZN9rocsparseL18bsrsv_upper_sharedILj128ELj64ELi16ELb1E21rocsparse_complex_numIdEEEviNS_24const_host_device_scalarIT3_EEPKiS7_PKS4_iS9_PS4_PiSB_SB_21rocsparse_index_base_20rocsparse_diag_type_20rocsparse_direction_b,"axG",@progbits,_ZN9rocsparseL18bsrsv_upper_sharedILj128ELj64ELi16ELb1E21rocsparse_complex_numIdEEEviNS_24const_host_device_scalarIT3_EEPKiS7_PKS4_iS9_PS4_PiSB_SB_21rocsparse_index_base_20rocsparse_diag_type_20rocsparse_direction_b,comdat
	.globl	_ZN9rocsparseL18bsrsv_upper_sharedILj128ELj64ELi16ELb1E21rocsparse_complex_numIdEEEviNS_24const_host_device_scalarIT3_EEPKiS7_PKS4_iS9_PS4_PiSB_SB_21rocsparse_index_base_20rocsparse_diag_type_20rocsparse_direction_b ; -- Begin function _ZN9rocsparseL18bsrsv_upper_sharedILj128ELj64ELi16ELb1E21rocsparse_complex_numIdEEEviNS_24const_host_device_scalarIT3_EEPKiS7_PKS4_iS9_PS4_PiSB_SB_21rocsparse_index_base_20rocsparse_diag_type_20rocsparse_direction_b
	.p2align	8
	.type	_ZN9rocsparseL18bsrsv_upper_sharedILj128ELj64ELi16ELb1E21rocsparse_complex_numIdEEEviNS_24const_host_device_scalarIT3_EEPKiS7_PKS4_iS9_PS4_PiSB_SB_21rocsparse_index_base_20rocsparse_diag_type_20rocsparse_direction_b,@function
_ZN9rocsparseL18bsrsv_upper_sharedILj128ELj64ELi16ELb1E21rocsparse_complex_numIdEEEviNS_24const_host_device_scalarIT3_EEPKiS7_PKS4_iS9_PS4_PiSB_SB_21rocsparse_index_base_20rocsparse_diag_type_20rocsparse_direction_b: ; @_ZN9rocsparseL18bsrsv_upper_sharedILj128ELj64ELi16ELb1E21rocsparse_complex_numIdEEEviNS_24const_host_device_scalarIT3_EEPKiS7_PKS4_iS9_PS4_PiSB_SB_21rocsparse_index_base_20rocsparse_diag_type_20rocsparse_direction_b
; %bb.0:
	s_add_u32 flat_scratch_lo, s6, s9
	s_load_dwordx4 s[12:15], s[4:5], 0x60
	s_load_dwordx4 s[16:19], s[4:5], 0x8
	s_addc_u32 flat_scratch_hi, s7, 0
	s_add_u32 s0, s0, s9
	s_addc_u32 s1, s1, 0
	s_waitcnt lgkmcnt(0)
	s_bitcmp1_b32 s15, 0
	s_cselect_b64 s[10:11], -1, 0
	s_mov_b64 s[6:7], src_private_base
	v_mov_b32_e32 v1, s17
	s_and_b64 vcc, s[10:11], exec
	buffer_store_dword v1, off, s[0:3], 0 offset:4
	v_mov_b32_e32 v1, s16
	s_cselect_b32 s6, s7, s17
	s_cselect_b32 s7, 0, s16
	buffer_store_dword v1, off, s[0:3], 0
	v_mov_b32_e32 v1, s7
	v_mov_b32_e32 v2, s6
	flat_load_dwordx2 v[1:2], v[1:2]
	v_mov_b32_e32 v7, s18
	v_mov_b32_e32 v8, s19
	s_cbranch_vccnz .LBB78_2
; %bb.1:
	v_mov_b32_e32 v3, s16
	v_mov_b32_e32 v4, s17
	flat_load_dwordx2 v[7:8], v[3:4] offset:8
.LBB78_2:
	s_load_dword s9, s[4:5], 0x0
	s_lshl_b32 s6, s8, 1
	v_lshrrev_b32_e32 v15, 6, v0
	s_and_b32 s6, s6, 0x3fffffe
	v_or_b32_e32 v3, s6, v15
	s_waitcnt lgkmcnt(0)
	v_cmp_gt_i32_e32 vcc, s9, v3
	s_and_saveexec_b64 s[6:7], vcc
	s_cbranch_execz .LBB78_33
; %bb.3:
	s_load_dwordx2 s[6:7], s[4:5], 0x50
	s_load_dwordx4 s[16:19], s[4:5], 0x40
	v_lshlrev_b32_e32 v3, 2, v3
	v_and_b32_e32 v12, 63, v0
	v_mov_b32_e32 v5, 0
	s_waitcnt lgkmcnt(0)
	global_load_dword v9, v3, s[6:7]
	s_load_dwordx2 s[6:7], s[4:5], 0x18
	s_load_dword s33, s[4:5], 0x30
	v_mov_b32_e32 v6, 0
	s_waitcnt lgkmcnt(0)
	v_mov_b32_e32 v4, s7
	v_cmp_gt_i32_e64 s[10:11], s33, v12
	s_waitcnt vmcnt(0)
	v_ashrrev_i32_e32 v10, 31, v9
	v_lshlrev_b64 v[10:11], 2, v[9:10]
	v_add_co_u32_e32 v3, vcc, s6, v10
	v_addc_co_u32_e32 v4, vcc, v4, v11, vcc
	global_load_dwordx2 v[13:14], v[3:4], off
	v_mov_b32_e32 v3, 0
	v_mov_b32_e32 v4, 0
	s_and_saveexec_b64 s[6:7], s[10:11]
	s_cbranch_execz .LBB78_5
; %bb.4:
	s_waitcnt vmcnt(0)
	v_mad_u64_u32 v[3:4], s[20:21], v9, s33, v[12:13]
	s_load_dwordx2 s[20:21], s[4:5], 0x38
	v_ashrrev_i32_e32 v4, 31, v3
	v_lshlrev_b64 v[3:4], 4, v[3:4]
	s_waitcnt lgkmcnt(0)
	v_mov_b32_e32 v5, s21
	v_add_co_u32_e32 v3, vcc, s20, v3
	v_addc_co_u32_e32 v4, vcc, v5, v4, vcc
	global_load_dwordx4 v[3:6], v[3:4], off
.LBB78_5:
	s_or_b64 exec, exec, s[6:7]
	s_waitcnt vmcnt(0)
	v_mul_f64 v[16:17], v[5:6], -v[7:8]
	v_mul_f64 v[5:6], v[1:2], v[5:6]
	s_load_dwordx2 s[24:25], s[4:5], 0x58
	v_subrev_u32_e32 v18, s12, v13
	v_xad_u32 v13, s12, -1, v14
	v_cmp_ge_i32_e32 vcc, v13, v18
	v_mov_b32_e32 v14, s9
	v_fma_f64 v[1:2], v[1:2], v[3:4], v[16:17]
	v_fma_f64 v[3:4], v[7:8], v[3:4], v[5:6]
	v_lshlrev_b32_e32 v16, 12, v15
	v_lshlrev_b32_e32 v17, 4, v12
	s_and_saveexec_b64 s[26:27], vcc
	s_cbranch_execz .LBB78_30
; %bb.6:
	v_mov_b32_e32 v5, 0x2000
	v_and_b32_e32 v0, 15, v0
	s_load_dwordx4 s[20:23], s[4:5], 0x20
	v_lshl_or_b32 v19, v15, 8, v5
	v_mad_u64_u32 v[5:6], s[4:5], s33, v13, v[0:1]
	v_lshrrev_b32_e32 v20, 4, v12
	s_cmp_lg_u32 s14, 0
	v_mul_lo_u32 v23, s33, v5
	v_lshlrev_b32_e32 v5, 8, v20
	v_lshlrev_b32_e32 v6, 4, v0
	v_cmp_gt_i32_e64 s[6:7], s33, v0
	s_cselect_b64 s[14:15], -1, 0
	v_cmp_gt_u32_e64 s[8:9], 16, v12
	v_add_u32_e32 v21, v19, v17
	v_add_u32_e32 v22, v16, v17
	s_mul_i32 s38, s33, s33
	v_add3_u32 v24, v16, v5, v6
	s_mov_b64 s[28:29], 0
	s_waitcnt lgkmcnt(0)
	v_mov_b32_e32 v25, s21
	s_branch .LBB78_9
.LBB78_7:                               ;   in Loop: Header=BB78_9 Depth=1
	s_or_b64 exec, exec, s[4:5]
.LBB78_8:                               ;   in Loop: Header=BB78_9 Depth=1
	s_or_b64 exec, exec, s[30:31]
	v_cmp_le_i32_e64 s[4:5], v13, v18
	s_xor_b64 s[30:31], vcc, -1
	s_or_b64 s[4:5], s[30:31], s[4:5]
	v_add_u32_e32 v5, -1, v13
	s_and_b64 s[4:5], exec, s[4:5]
	v_subrev_u32_e32 v23, s38, v23
	s_or_b64 s[28:29], s[4:5], s[28:29]
	v_mov_b32_e32 v13, v5
	s_andn2_b64 exec, exec, s[28:29]
	s_cbranch_execz .LBB78_29
.LBB78_9:                               ; =>This Loop Header: Depth=1
                                        ;     Child Loop BB78_12 Depth 2
                                        ;     Child Loop BB78_21 Depth 2
                                        ;       Child Loop BB78_22 Depth 3
	v_ashrrev_i32_e32 v14, 31, v13
	v_lshlrev_b64 v[5:6], 2, v[13:14]
	v_mul_lo_u32 v15, v13, s33
	v_add_co_u32_e32 v5, vcc, s20, v5
	v_addc_co_u32_e32 v6, vcc, v25, v6, vcc
	global_load_dword v14, v[5:6], off
	s_mov_b64 s[4:5], 0
	v_mov_b32_e32 v26, v24
	v_mov_b32_e32 v27, v20
	s_branch .LBB78_12
.LBB78_10:                              ;   in Loop: Header=BB78_12 Depth=2
	v_ashrrev_i32_e32 v6, 31, v5
	v_lshlrev_b64 v[5:6], 4, v[5:6]
	v_mov_b32_e32 v7, s23
	v_add_co_u32_e32 v5, vcc, s22, v5
	v_addc_co_u32_e32 v6, vcc, v7, v6, vcc
	global_load_dwordx4 v[5:8], v[5:6], off
.LBB78_11:                              ;   in Loop: Header=BB78_12 Depth=2
	s_or_b64 exec, exec, s[30:31]
	s_waitcnt vmcnt(0)
	ds_write_b128 v26, v[5:8]
	v_add_u32_e32 v5, 4, v27
	v_cmp_lt_u32_e32 vcc, 11, v27
	v_add_u32_e32 v26, 0x400, v26
	s_or_b64 s[4:5], vcc, s[4:5]
	v_mov_b32_e32 v27, v5
	s_andn2_b64 exec, exec, s[4:5]
	s_cbranch_execz .LBB78_17
.LBB78_12:                              ;   Parent Loop BB78_9 Depth=1
                                        ; =>  This Inner Loop Header: Depth=2
	v_cmp_gt_i32_e32 vcc, s33, v27
	v_mov_b32_e32 v5, 0
	v_mov_b32_e32 v7, 0
	;; [unrolled: 1-line block ×4, first 2 shown]
	s_and_b64 s[34:35], s[6:7], vcc
	s_and_saveexec_b64 s[30:31], s[34:35]
	s_cbranch_execz .LBB78_11
; %bb.13:                               ;   in Loop: Header=BB78_12 Depth=2
	s_and_b64 vcc, exec, s[14:15]
	s_cbranch_vccz .LBB78_15
; %bb.14:                               ;   in Loop: Header=BB78_12 Depth=2
	v_add_u32_e32 v5, v27, v15
	v_mad_u64_u32 v[5:6], s[34:35], v5, s33, v[0:1]
	s_cbranch_execnz .LBB78_10
	s_branch .LBB78_16
.LBB78_15:                              ;   in Loop: Header=BB78_12 Depth=2
                                        ; implicit-def: $vgpr5
.LBB78_16:                              ;   in Loop: Header=BB78_12 Depth=2
	v_add_u32_e32 v5, v23, v27
	s_branch .LBB78_10
.LBB78_17:                              ;   in Loop: Header=BB78_9 Depth=1
	s_or_b64 exec, exec, s[4:5]
	v_subrev_u32_e32 v14, s12, v14
	v_cmp_gt_i32_e32 vcc, v14, v9
	s_and_saveexec_b64 s[30:31], vcc
	s_cbranch_execz .LBB78_8
; %bb.18:                               ;   in Loop: Header=BB78_9 Depth=1
	v_ashrrev_i32_e32 v15, 31, v14
	v_lshlrev_b64 v[5:6], 2, v[14:15]
	v_mov_b32_e32 v7, s19
	v_add_co_u32_e64 v5, s[4:5], s18, v5
	v_addc_co_u32_e64 v6, s[4:5], v7, v6, s[4:5]
	global_load_dword v7, v[5:6], off glc
	s_waitcnt vmcnt(0)
	v_cmp_eq_u32_e64 s[4:5], 0, v7
	s_and_saveexec_b64 s[34:35], s[4:5]
	s_cbranch_execz .LBB78_23
; %bb.19:                               ;   in Loop: Header=BB78_9 Depth=1
	s_mov_b32 s21, 0
	s_mov_b64 s[36:37], 0
	s_branch .LBB78_21
.LBB78_20:                              ;   in Loop: Header=BB78_21 Depth=2
	global_load_dword v7, v[5:6], off glc
	s_cmpk_lt_u32 s21, 0xf43
	s_cselect_b64 s[4:5], -1, 0
	s_cmp_lg_u64 s[4:5], 0
	s_addc_u32 s21, s21, 0
	s_waitcnt vmcnt(0)
	v_cmp_ne_u32_e64 s[4:5], 0, v7
	s_or_b64 s[36:37], s[4:5], s[36:37]
	s_andn2_b64 exec, exec, s[36:37]
	s_cbranch_execz .LBB78_23
.LBB78_21:                              ;   Parent Loop BB78_9 Depth=1
                                        ; =>  This Loop Header: Depth=2
                                        ;       Child Loop BB78_22 Depth 3
	s_cmp_eq_u32 s21, 0
	s_mov_b32 s4, s21
	s_cbranch_scc1 .LBB78_20
.LBB78_22:                              ;   Parent Loop BB78_9 Depth=1
                                        ;     Parent Loop BB78_21 Depth=2
                                        ; =>    This Inner Loop Header: Depth=3
	s_add_i32 s4, s4, -1
	s_cmp_eq_u32 s4, 0
	s_sleep 1
	s_cbranch_scc0 .LBB78_22
	s_branch .LBB78_20
.LBB78_23:                              ;   in Loop: Header=BB78_9 Depth=1
	s_or_b64 exec, exec, s[34:35]
	s_waitcnt lgkmcnt(0)
	buffer_wbinvl1_vol
	s_and_saveexec_b64 s[34:35], s[8:9]
	s_cbranch_execz .LBB78_27
; %bb.24:                               ;   in Loop: Header=BB78_9 Depth=1
	v_mov_b32_e32 v7, 0
	v_mov_b32_e32 v5, 0
	;; [unrolled: 1-line block ×4, first 2 shown]
	s_and_saveexec_b64 s[36:37], s[10:11]
	s_cbranch_execz .LBB78_26
; %bb.25:                               ;   in Loop: Header=BB78_9 Depth=1
	v_mad_u64_u32 v[5:6], s[4:5], v14, s33, v[12:13]
	v_mov_b32_e32 v7, s17
	v_ashrrev_i32_e32 v6, 31, v5
	v_lshlrev_b64 v[5:6], 4, v[5:6]
	v_add_co_u32_e64 v5, s[4:5], s16, v5
	v_addc_co_u32_e64 v6, s[4:5], v7, v6, s[4:5]
	global_load_dwordx4 v[5:8], v[5:6], off
.LBB78_26:                              ;   in Loop: Header=BB78_9 Depth=1
	s_or_b64 exec, exec, s[36:37]
	s_waitcnt vmcnt(0)
	ds_write_b128 v21, v[5:8]
.LBB78_27:                              ;   in Loop: Header=BB78_9 Depth=1
	s_or_b64 exec, exec, s[34:35]
	s_waitcnt lgkmcnt(0)
	s_and_saveexec_b64 s[4:5], s[10:11]
	s_cbranch_execz .LBB78_7
; %bb.28:                               ;   in Loop: Header=BB78_9 Depth=1
	ds_read_b128 v[5:8], v22
	ds_read_b128 v[26:29], v19
	ds_read_b128 v[30:33], v19 offset:16
	ds_read_b128 v[34:37], v22 offset:256
	s_waitcnt lgkmcnt(2)
	v_fma_f64 v[1:2], -v[5:6], v[26:27], v[1:2]
	v_fma_f64 v[3:4], -v[7:8], v[26:27], v[3:4]
	v_fma_f64 v[1:2], v[7:8], v[28:29], v[1:2]
	v_fma_f64 v[3:4], -v[5:6], v[28:29], v[3:4]
	s_waitcnt lgkmcnt(0)
	v_fma_f64 v[1:2], -v[34:35], v[30:31], v[1:2]
	v_fma_f64 v[3:4], -v[36:37], v[30:31], v[3:4]
	v_fma_f64 v[36:37], v[36:37], v[32:33], v[1:2]
	v_fma_f64 v[34:35], -v[34:35], v[32:33], v[3:4]
	ds_read_b128 v[1:4], v22 offset:512
	ds_read_b128 v[5:8], v19 offset:32
	ds_read_b128 v[26:29], v19 offset:48
	ds_read_b128 v[30:33], v22 offset:768
	s_waitcnt lgkmcnt(2)
	v_fma_f64 v[36:37], -v[1:2], v[5:6], v[36:37]
	v_fma_f64 v[5:6], -v[3:4], v[5:6], v[34:35]
	v_fma_f64 v[3:4], v[3:4], v[7:8], v[36:37]
	v_fma_f64 v[1:2], -v[1:2], v[7:8], v[5:6]
	s_waitcnt lgkmcnt(0)
	v_fma_f64 v[3:4], -v[30:31], v[26:27], v[3:4]
	v_fma_f64 v[1:2], -v[32:33], v[26:27], v[1:2]
	v_fma_f64 v[34:35], v[32:33], v[28:29], v[3:4]
	v_fma_f64 v[36:37], -v[30:31], v[28:29], v[1:2]
	ds_read_b128 v[1:4], v19 offset:64
	ds_read_b128 v[5:8], v22 offset:1024
	;; [unrolled: 14-line block ×7, first 2 shown]
	ds_read_b128 v[26:29], v22 offset:3840
	ds_read_b128 v[30:33], v19 offset:240
	s_waitcnt lgkmcnt(2)
	v_fma_f64 v[34:35], -v[5:6], v[1:2], v[34:35]
	v_fma_f64 v[1:2], -v[7:8], v[1:2], v[36:37]
	v_fma_f64 v[7:8], v[7:8], v[3:4], v[34:35]
	v_fma_f64 v[1:2], -v[5:6], v[3:4], v[1:2]
	s_waitcnt lgkmcnt(0)
	v_fma_f64 v[3:4], -v[26:27], v[30:31], v[7:8]
	v_fma_f64 v[5:6], -v[28:29], v[30:31], v[1:2]
	v_fma_f64 v[1:2], v[28:29], v[32:33], v[3:4]
	v_fma_f64 v[3:4], -v[26:27], v[32:33], v[5:6]
	s_branch .LBB78_7
.LBB78_29:
	s_or_b64 exec, exec, s[28:29]
.LBB78_30:
	s_or_b64 exec, exec, s[26:27]
	s_cmp_gt_i32 s33, 0
	v_cmp_eq_u32_e32 vcc, v14, v9
	s_cselect_b64 s[4:5], -1, 0
	s_and_b64 s[6:7], s[4:5], vcc
	s_mov_b64 s[4:5], 0
	s_and_saveexec_b64 s[8:9], s[6:7]
	s_cbranch_execnz .LBB78_34
; %bb.31:
	s_or_b64 exec, exec, s[8:9]
	s_and_saveexec_b64 s[6:7], s[10:11]
	s_cbranch_execnz .LBB78_48
.LBB78_32:
	s_or_b64 exec, exec, s[6:7]
	v_cmp_eq_u32_e32 vcc, 0, v12
	s_and_b64 exec, exec, vcc
	s_cbranch_execnz .LBB78_49
.LBB78_33:
	s_endpgm
.LBB78_34:
	v_lshl_add_u32 v5, s33, 8, v16
	s_movk_i32 s6, 0xff00
	s_cmp_eq_u32 s13, 0
	v_add3_u32 v17, v5, v17, s6
	s_mul_i32 s6, s33, 0x110
	s_cselect_b64 s[4:5], -1, 0
	v_mbcnt_lo_u32_b32 v0, -1, 0
	v_add_u32_e32 v5, s6, v16
	v_mbcnt_hi_u32_b32 v0, -1, v0
	v_add_u32_e32 v18, 0xfffffef0, v5
	v_cndmask_b32_e64 v5, 0, 1, s[4:5]
	v_and_b32_e32 v0, 64, v0
	s_add_i32 s13, s33, -1
	s_mov_b64 s[20:21], 0
	v_cmp_ne_u32_e64 s[6:7], 1, v5
                                        ; implicit-def: $sgpr14_sgpr15
	s_and_b64 vcc, exec, s[6:7]
	s_cbranch_vccz .LBB78_36
.LBB78_35:
	v_mov_b32_e32 v5, 0
	v_mov_b32_e32 v7, 0
	;; [unrolled: 1-line block ×4, first 2 shown]
	s_branch .LBB78_37
.LBB78_36:
	ds_read_b128 v[5:8], v18
.LBB78_37:
	s_waitcnt lgkmcnt(0)
	v_cmp_neq_f64_e32 vcc, 0, v[5:6]
	v_cmp_neq_f64_e64 s[4:5], 0, v[7:8]
	v_and_or_b32 v13, s13, 63, v0
	v_lshlrev_b32_e32 v14, 2, v13
	ds_bpermute_b32 v15, v14, v1
	ds_bpermute_b32 v16, v14, v2
	;; [unrolled: 1-line block ×4, first 2 shown]
	s_or_b64 s[14:15], s[14:15], exec
	s_or_b64 s[22:23], vcc, s[4:5]
	s_and_saveexec_b64 s[4:5], s[22:23]
	s_cbranch_execz .LBB78_39
; %bb.38:
	v_mul_f64 v[19:20], v[7:8], v[7:8]
	s_andn2_b64 s[14:15], s[14:15], exec
	s_and_b64 s[20:21], s[20:21], exec
	s_or_b64 s[14:15], s[14:15], s[20:21]
	v_fma_f64 v[19:20], v[5:6], v[5:6], v[19:20]
	v_div_scale_f64 v[21:22], s[22:23], v[19:20], v[19:20], 1.0
	v_rcp_f64_e32 v[23:24], v[21:22]
	v_fma_f64 v[25:26], -v[21:22], v[23:24], 1.0
	v_fma_f64 v[23:24], v[23:24], v[25:26], v[23:24]
	v_div_scale_f64 v[25:26], vcc, 1.0, v[19:20], 1.0
	v_fma_f64 v[27:28], -v[21:22], v[23:24], 1.0
	v_fma_f64 v[23:24], v[23:24], v[27:28], v[23:24]
	v_mul_f64 v[27:28], v[25:26], v[23:24]
	v_fma_f64 v[21:22], -v[21:22], v[27:28], v[25:26]
	v_div_fmas_f64 v[21:22], v[21:22], v[23:24], v[27:28]
	s_waitcnt lgkmcnt(0)
	v_mul_f64 v[23:24], v[7:8], v[13:14]
	v_mul_f64 v[7:8], v[7:8], -v[15:16]
	v_fma_f64 v[15:16], v[15:16], v[5:6], v[23:24]
	v_fma_f64 v[5:6], v[13:14], v[5:6], v[7:8]
	v_div_fixup_f64 v[19:20], v[21:22], v[19:20], 1.0
	v_mul_f64 v[15:16], v[19:20], v[15:16]
	v_mul_f64 v[13:14], v[19:20], v[5:6]
.LBB78_39:
	s_or_b64 exec, exec, s[4:5]
	s_and_saveexec_b64 s[4:5], s[10:11]
	s_cbranch_execz .LBB78_45
; %bb.40:
	v_cmp_le_i32_e32 vcc, s13, v12
	s_and_saveexec_b64 s[20:21], vcc
	s_xor_b64 s[20:21], exec, s[20:21]
	s_cbranch_execz .LBB78_42
; %bb.41:
	v_cmp_eq_u32_e32 vcc, s13, v12
	s_waitcnt lgkmcnt(2)
	v_cndmask_b32_e32 v2, v2, v16, vcc
	v_cndmask_b32_e32 v1, v1, v15, vcc
	s_waitcnt lgkmcnt(0)
	v_cndmask_b32_e32 v4, v4, v14, vcc
	v_cndmask_b32_e32 v3, v3, v13, vcc
                                        ; implicit-def: $vgpr15_vgpr16
                                        ; implicit-def: $vgpr13_vgpr14
.LBB78_42:
	s_andn2_saveexec_b64 s[20:21], s[20:21]
	s_cbranch_execz .LBB78_44
; %bb.43:
	ds_read_b128 v[5:8], v17
	s_waitcnt lgkmcnt(0)
	v_fma_f64 v[1:2], -v[15:16], v[5:6], v[1:2]
	v_fma_f64 v[3:4], -v[13:14], v[5:6], v[3:4]
	v_fma_f64 v[1:2], v[13:14], v[7:8], v[1:2]
	v_fma_f64 v[3:4], -v[15:16], v[7:8], v[3:4]
.LBB78_44:
	s_or_b64 exec, exec, s[20:21]
.LBB78_45:
	s_or_b64 exec, exec, s[4:5]
	s_add_i32 s4, s13, -1
	s_add_i32 s5, s13, 1
	v_add_u32_e32 v17, 0xffffff00, v17
	s_cmp_gt_u32 s5, 1
	v_add_u32_e32 v18, 0xfffffef0, v18
	s_cbranch_scc0 .LBB78_47
; %bb.46:
	s_mov_b64 s[20:21], s[14:15]
	s_mov_b32 s13, s4
	s_and_b64 vcc, exec, s[6:7]
	s_cbranch_vccnz .LBB78_35
	s_branch .LBB78_36
.LBB78_47:
	s_and_b64 s[4:5], s[14:15], exec
	s_or_b64 exec, exec, s[8:9]
	s_and_saveexec_b64 s[6:7], s[10:11]
	s_cbranch_execz .LBB78_32
.LBB78_48:
	s_waitcnt lgkmcnt(0)
	v_mad_u64_u32 v[5:6], s[8:9], v9, s33, v[12:13]
	v_mov_b32_e32 v0, s17
	v_ashrrev_i32_e32 v6, 31, v5
	v_lshlrev_b64 v[5:6], 4, v[5:6]
	v_add_co_u32_e32 v5, vcc, s16, v5
	v_addc_co_u32_e32 v6, vcc, v0, v6, vcc
	global_store_dwordx4 v[5:6], v[1:4], off
	s_or_b64 exec, exec, s[6:7]
	v_cmp_eq_u32_e32 vcc, 0, v12
	s_and_b64 exec, exec, vcc
	s_cbranch_execz .LBB78_33
.LBB78_49:
	v_mov_b32_e32 v1, s19
	v_add_co_u32_e32 v0, vcc, s18, v10
	v_addc_co_u32_e32 v1, vcc, v1, v11, vcc
	v_mov_b32_e32 v2, 1
	s_waitcnt vmcnt(0) lgkmcnt(0)
	global_store_dword v[0:1], v2, off
	s_and_b64 exec, exec, s[4:5]
	s_cbranch_execz .LBB78_33
; %bb.50:
	s_mov_b64 s[4:5], exec
	v_add_u32_e32 v0, s12, v9
	s_brev_b32 s6, -2
.LBB78_51:                              ; =>This Inner Loop Header: Depth=1
	s_ff1_i32_b64 s7, s[4:5]
	v_readlane_b32 s10, v0, s7
	s_lshl_b64 s[8:9], 1, s7
	s_min_i32 s6, s6, s10
	s_andn2_b64 s[4:5], s[4:5], s[8:9]
	s_cmp_lg_u64 s[4:5], 0
	s_cbranch_scc1 .LBB78_51
; %bb.52:
	v_mbcnt_lo_u32_b32 v0, exec_lo, 0
	v_mbcnt_hi_u32_b32 v0, exec_hi, v0
	v_cmp_eq_u32_e32 vcc, 0, v0
	s_and_saveexec_b64 s[4:5], vcc
	s_xor_b64 s[4:5], exec, s[4:5]
	s_cbranch_execz .LBB78_33
; %bb.53:
	v_mov_b32_e32 v0, 0
	v_mov_b32_e32 v1, s6
	global_atomic_smin v0, v1, s[24:25]
	s_endpgm
	.section	.rodata,"a",@progbits
	.p2align	6, 0x0
	.amdhsa_kernel _ZN9rocsparseL18bsrsv_upper_sharedILj128ELj64ELi16ELb1E21rocsparse_complex_numIdEEEviNS_24const_host_device_scalarIT3_EEPKiS7_PKS4_iS9_PS4_PiSB_SB_21rocsparse_index_base_20rocsparse_diag_type_20rocsparse_direction_b
		.amdhsa_group_segment_fixed_size 8704
		.amdhsa_private_segment_fixed_size 16
		.amdhsa_kernarg_size 112
		.amdhsa_user_sgpr_count 8
		.amdhsa_user_sgpr_private_segment_buffer 1
		.amdhsa_user_sgpr_dispatch_ptr 0
		.amdhsa_user_sgpr_queue_ptr 0
		.amdhsa_user_sgpr_kernarg_segment_ptr 1
		.amdhsa_user_sgpr_dispatch_id 0
		.amdhsa_user_sgpr_flat_scratch_init 1
		.amdhsa_user_sgpr_private_segment_size 0
		.amdhsa_uses_dynamic_stack 0
		.amdhsa_system_sgpr_private_segment_wavefront_offset 1
		.amdhsa_system_sgpr_workgroup_id_x 1
		.amdhsa_system_sgpr_workgroup_id_y 0
		.amdhsa_system_sgpr_workgroup_id_z 0
		.amdhsa_system_sgpr_workgroup_info 0
		.amdhsa_system_vgpr_workitem_id 0
		.amdhsa_next_free_vgpr 49
		.amdhsa_next_free_sgpr 96
		.amdhsa_reserve_vcc 1
		.amdhsa_reserve_flat_scratch 1
		.amdhsa_float_round_mode_32 0
		.amdhsa_float_round_mode_16_64 0
		.amdhsa_float_denorm_mode_32 3
		.amdhsa_float_denorm_mode_16_64 3
		.amdhsa_dx10_clamp 1
		.amdhsa_ieee_mode 1
		.amdhsa_fp16_overflow 0
		.amdhsa_exception_fp_ieee_invalid_op 0
		.amdhsa_exception_fp_denorm_src 0
		.amdhsa_exception_fp_ieee_div_zero 0
		.amdhsa_exception_fp_ieee_overflow 0
		.amdhsa_exception_fp_ieee_underflow 0
		.amdhsa_exception_fp_ieee_inexact 0
		.amdhsa_exception_int_div_zero 0
	.end_amdhsa_kernel
	.section	.text._ZN9rocsparseL18bsrsv_upper_sharedILj128ELj64ELi16ELb1E21rocsparse_complex_numIdEEEviNS_24const_host_device_scalarIT3_EEPKiS7_PKS4_iS9_PS4_PiSB_SB_21rocsparse_index_base_20rocsparse_diag_type_20rocsparse_direction_b,"axG",@progbits,_ZN9rocsparseL18bsrsv_upper_sharedILj128ELj64ELi16ELb1E21rocsparse_complex_numIdEEEviNS_24const_host_device_scalarIT3_EEPKiS7_PKS4_iS9_PS4_PiSB_SB_21rocsparse_index_base_20rocsparse_diag_type_20rocsparse_direction_b,comdat
.Lfunc_end78:
	.size	_ZN9rocsparseL18bsrsv_upper_sharedILj128ELj64ELi16ELb1E21rocsparse_complex_numIdEEEviNS_24const_host_device_scalarIT3_EEPKiS7_PKS4_iS9_PS4_PiSB_SB_21rocsparse_index_base_20rocsparse_diag_type_20rocsparse_direction_b, .Lfunc_end78-_ZN9rocsparseL18bsrsv_upper_sharedILj128ELj64ELi16ELb1E21rocsparse_complex_numIdEEEviNS_24const_host_device_scalarIT3_EEPKiS7_PKS4_iS9_PS4_PiSB_SB_21rocsparse_index_base_20rocsparse_diag_type_20rocsparse_direction_b
                                        ; -- End function
	.set _ZN9rocsparseL18bsrsv_upper_sharedILj128ELj64ELi16ELb1E21rocsparse_complex_numIdEEEviNS_24const_host_device_scalarIT3_EEPKiS7_PKS4_iS9_PS4_PiSB_SB_21rocsparse_index_base_20rocsparse_diag_type_20rocsparse_direction_b.num_vgpr, 38
	.set _ZN9rocsparseL18bsrsv_upper_sharedILj128ELj64ELi16ELb1E21rocsparse_complex_numIdEEEviNS_24const_host_device_scalarIT3_EEPKiS7_PKS4_iS9_PS4_PiSB_SB_21rocsparse_index_base_20rocsparse_diag_type_20rocsparse_direction_b.num_agpr, 0
	.set _ZN9rocsparseL18bsrsv_upper_sharedILj128ELj64ELi16ELb1E21rocsparse_complex_numIdEEEviNS_24const_host_device_scalarIT3_EEPKiS7_PKS4_iS9_PS4_PiSB_SB_21rocsparse_index_base_20rocsparse_diag_type_20rocsparse_direction_b.numbered_sgpr, 39
	.set _ZN9rocsparseL18bsrsv_upper_sharedILj128ELj64ELi16ELb1E21rocsparse_complex_numIdEEEviNS_24const_host_device_scalarIT3_EEPKiS7_PKS4_iS9_PS4_PiSB_SB_21rocsparse_index_base_20rocsparse_diag_type_20rocsparse_direction_b.num_named_barrier, 0
	.set _ZN9rocsparseL18bsrsv_upper_sharedILj128ELj64ELi16ELb1E21rocsparse_complex_numIdEEEviNS_24const_host_device_scalarIT3_EEPKiS7_PKS4_iS9_PS4_PiSB_SB_21rocsparse_index_base_20rocsparse_diag_type_20rocsparse_direction_b.private_seg_size, 16
	.set _ZN9rocsparseL18bsrsv_upper_sharedILj128ELj64ELi16ELb1E21rocsparse_complex_numIdEEEviNS_24const_host_device_scalarIT3_EEPKiS7_PKS4_iS9_PS4_PiSB_SB_21rocsparse_index_base_20rocsparse_diag_type_20rocsparse_direction_b.uses_vcc, 1
	.set _ZN9rocsparseL18bsrsv_upper_sharedILj128ELj64ELi16ELb1E21rocsparse_complex_numIdEEEviNS_24const_host_device_scalarIT3_EEPKiS7_PKS4_iS9_PS4_PiSB_SB_21rocsparse_index_base_20rocsparse_diag_type_20rocsparse_direction_b.uses_flat_scratch, 1
	.set _ZN9rocsparseL18bsrsv_upper_sharedILj128ELj64ELi16ELb1E21rocsparse_complex_numIdEEEviNS_24const_host_device_scalarIT3_EEPKiS7_PKS4_iS9_PS4_PiSB_SB_21rocsparse_index_base_20rocsparse_diag_type_20rocsparse_direction_b.has_dyn_sized_stack, 0
	.set _ZN9rocsparseL18bsrsv_upper_sharedILj128ELj64ELi16ELb1E21rocsparse_complex_numIdEEEviNS_24const_host_device_scalarIT3_EEPKiS7_PKS4_iS9_PS4_PiSB_SB_21rocsparse_index_base_20rocsparse_diag_type_20rocsparse_direction_b.has_recursion, 0
	.set _ZN9rocsparseL18bsrsv_upper_sharedILj128ELj64ELi16ELb1E21rocsparse_complex_numIdEEEviNS_24const_host_device_scalarIT3_EEPKiS7_PKS4_iS9_PS4_PiSB_SB_21rocsparse_index_base_20rocsparse_diag_type_20rocsparse_direction_b.has_indirect_call, 0
	.section	.AMDGPU.csdata,"",@progbits
; Kernel info:
; codeLenInByte = 2756
; TotalNumSgprs: 45
; NumVgprs: 38
; ScratchSize: 16
; MemoryBound: 1
; FloatMode: 240
; IeeeMode: 1
; LDSByteSize: 8704 bytes/workgroup (compile time only)
; SGPRBlocks: 12
; VGPRBlocks: 12
; NumSGPRsForWavesPerEU: 102
; NumVGPRsForWavesPerEU: 49
; Occupancy: 4
; WaveLimiterHint : 1
; COMPUTE_PGM_RSRC2:SCRATCH_EN: 1
; COMPUTE_PGM_RSRC2:USER_SGPR: 8
; COMPUTE_PGM_RSRC2:TRAP_HANDLER: 0
; COMPUTE_PGM_RSRC2:TGID_X_EN: 1
; COMPUTE_PGM_RSRC2:TGID_Y_EN: 0
; COMPUTE_PGM_RSRC2:TGID_Z_EN: 0
; COMPUTE_PGM_RSRC2:TIDIG_COMP_CNT: 0
	.section	.text._ZN9rocsparseL18bsrsv_upper_sharedILj128ELj64ELi16ELb0E21rocsparse_complex_numIdEEEviNS_24const_host_device_scalarIT3_EEPKiS7_PKS4_iS9_PS4_PiSB_SB_21rocsparse_index_base_20rocsparse_diag_type_20rocsparse_direction_b,"axG",@progbits,_ZN9rocsparseL18bsrsv_upper_sharedILj128ELj64ELi16ELb0E21rocsparse_complex_numIdEEEviNS_24const_host_device_scalarIT3_EEPKiS7_PKS4_iS9_PS4_PiSB_SB_21rocsparse_index_base_20rocsparse_diag_type_20rocsparse_direction_b,comdat
	.globl	_ZN9rocsparseL18bsrsv_upper_sharedILj128ELj64ELi16ELb0E21rocsparse_complex_numIdEEEviNS_24const_host_device_scalarIT3_EEPKiS7_PKS4_iS9_PS4_PiSB_SB_21rocsparse_index_base_20rocsparse_diag_type_20rocsparse_direction_b ; -- Begin function _ZN9rocsparseL18bsrsv_upper_sharedILj128ELj64ELi16ELb0E21rocsparse_complex_numIdEEEviNS_24const_host_device_scalarIT3_EEPKiS7_PKS4_iS9_PS4_PiSB_SB_21rocsparse_index_base_20rocsparse_diag_type_20rocsparse_direction_b
	.p2align	8
	.type	_ZN9rocsparseL18bsrsv_upper_sharedILj128ELj64ELi16ELb0E21rocsparse_complex_numIdEEEviNS_24const_host_device_scalarIT3_EEPKiS7_PKS4_iS9_PS4_PiSB_SB_21rocsparse_index_base_20rocsparse_diag_type_20rocsparse_direction_b,@function
_ZN9rocsparseL18bsrsv_upper_sharedILj128ELj64ELi16ELb0E21rocsparse_complex_numIdEEEviNS_24const_host_device_scalarIT3_EEPKiS7_PKS4_iS9_PS4_PiSB_SB_21rocsparse_index_base_20rocsparse_diag_type_20rocsparse_direction_b: ; @_ZN9rocsparseL18bsrsv_upper_sharedILj128ELj64ELi16ELb0E21rocsparse_complex_numIdEEEviNS_24const_host_device_scalarIT3_EEPKiS7_PKS4_iS9_PS4_PiSB_SB_21rocsparse_index_base_20rocsparse_diag_type_20rocsparse_direction_b
; %bb.0:
	s_add_u32 flat_scratch_lo, s6, s9
	s_load_dwordx4 s[12:15], s[4:5], 0x60
	s_load_dwordx4 s[16:19], s[4:5], 0x8
	s_addc_u32 flat_scratch_hi, s7, 0
	s_add_u32 s0, s0, s9
	s_addc_u32 s1, s1, 0
	s_waitcnt lgkmcnt(0)
	s_bitcmp1_b32 s15, 0
	s_cselect_b64 s[10:11], -1, 0
	s_mov_b64 s[6:7], src_private_base
	v_mov_b32_e32 v1, s17
	s_and_b64 vcc, s[10:11], exec
	buffer_store_dword v1, off, s[0:3], 0 offset:4
	v_mov_b32_e32 v1, s16
	s_cselect_b32 s6, s7, s17
	s_cselect_b32 s7, 0, s16
	buffer_store_dword v1, off, s[0:3], 0
	v_mov_b32_e32 v1, s7
	v_mov_b32_e32 v2, s6
	flat_load_dwordx2 v[1:2], v[1:2]
	v_mov_b32_e32 v7, s18
	v_mov_b32_e32 v8, s19
	s_cbranch_vccnz .LBB79_2
; %bb.1:
	v_mov_b32_e32 v3, s16
	v_mov_b32_e32 v4, s17
	flat_load_dwordx2 v[7:8], v[3:4] offset:8
.LBB79_2:
	s_load_dword s9, s[4:5], 0x0
	s_lshl_b32 s6, s8, 1
	v_lshrrev_b32_e32 v15, 6, v0
	s_and_b32 s6, s6, 0x3fffffe
	v_or_b32_e32 v3, s6, v15
	s_waitcnt lgkmcnt(0)
	v_cmp_gt_i32_e32 vcc, s9, v3
	s_and_saveexec_b64 s[6:7], vcc
	s_cbranch_execz .LBB79_31
; %bb.3:
	s_load_dwordx2 s[6:7], s[4:5], 0x50
	s_load_dwordx4 s[16:19], s[4:5], 0x40
	v_lshlrev_b32_e32 v3, 2, v3
	v_and_b32_e32 v12, 63, v0
	v_mov_b32_e32 v5, 0
	s_waitcnt lgkmcnt(0)
	global_load_dword v9, v3, s[6:7]
	s_load_dwordx2 s[6:7], s[4:5], 0x18
	s_load_dword s33, s[4:5], 0x30
	v_mov_b32_e32 v6, 0
	s_waitcnt lgkmcnt(0)
	v_mov_b32_e32 v4, s7
	v_cmp_gt_i32_e64 s[10:11], s33, v12
	s_waitcnt vmcnt(0)
	v_ashrrev_i32_e32 v10, 31, v9
	v_lshlrev_b64 v[10:11], 2, v[9:10]
	v_add_co_u32_e32 v3, vcc, s6, v10
	v_addc_co_u32_e32 v4, vcc, v4, v11, vcc
	global_load_dwordx2 v[13:14], v[3:4], off
	v_mov_b32_e32 v3, 0
	v_mov_b32_e32 v4, 0
	s_and_saveexec_b64 s[6:7], s[10:11]
	s_cbranch_execz .LBB79_5
; %bb.4:
	s_waitcnt vmcnt(0)
	v_mad_u64_u32 v[3:4], s[20:21], v9, s33, v[12:13]
	s_load_dwordx2 s[20:21], s[4:5], 0x38
	v_ashrrev_i32_e32 v4, 31, v3
	v_lshlrev_b64 v[3:4], 4, v[3:4]
	s_waitcnt lgkmcnt(0)
	v_mov_b32_e32 v5, s21
	v_add_co_u32_e32 v3, vcc, s20, v3
	v_addc_co_u32_e32 v4, vcc, v5, v4, vcc
	global_load_dwordx4 v[3:6], v[3:4], off
.LBB79_5:
	s_or_b64 exec, exec, s[6:7]
	s_waitcnt vmcnt(0)
	v_mul_f64 v[16:17], v[5:6], -v[7:8]
	v_mul_f64 v[5:6], v[1:2], v[5:6]
	s_load_dwordx2 s[24:25], s[4:5], 0x58
	v_subrev_u32_e32 v18, s12, v13
	v_xad_u32 v13, s12, -1, v14
	v_cmp_ge_i32_e32 vcc, v13, v18
	v_mov_b32_e32 v14, s9
	v_fma_f64 v[1:2], v[1:2], v[3:4], v[16:17]
	v_fma_f64 v[3:4], v[7:8], v[3:4], v[5:6]
	v_lshlrev_b32_e32 v16, 12, v15
	v_lshlrev_b32_e32 v17, 4, v12
	s_and_saveexec_b64 s[26:27], vcc
	s_cbranch_execz .LBB79_28
; %bb.6:
	v_mov_b32_e32 v5, 0x2000
	v_and_b32_e32 v0, 15, v0
	s_load_dwordx4 s[20:23], s[4:5], 0x20
	v_lshl_or_b32 v19, v15, 8, v5
	v_mad_u64_u32 v[5:6], s[4:5], s33, v13, v[0:1]
	v_lshrrev_b32_e32 v20, 4, v12
	s_cmp_lg_u32 s14, 0
	v_mul_lo_u32 v23, s33, v5
	v_lshlrev_b32_e32 v5, 8, v20
	v_lshlrev_b32_e32 v6, 4, v0
	v_cmp_gt_i32_e64 s[6:7], s33, v0
	s_cselect_b64 s[14:15], -1, 0
	v_cmp_gt_u32_e64 s[8:9], 16, v12
	v_add_u32_e32 v21, v19, v17
	v_add_u32_e32 v22, v16, v17
	s_mul_i32 s38, s33, s33
	v_add3_u32 v24, v16, v5, v6
	s_mov_b64 s[28:29], 0
	s_waitcnt lgkmcnt(0)
	v_mov_b32_e32 v25, s21
	s_branch .LBB79_9
.LBB79_7:                               ;   in Loop: Header=BB79_9 Depth=1
	s_or_b64 exec, exec, s[4:5]
.LBB79_8:                               ;   in Loop: Header=BB79_9 Depth=1
	s_or_b64 exec, exec, s[30:31]
	v_cmp_le_i32_e64 s[4:5], v13, v18
	s_xor_b64 s[30:31], vcc, -1
	s_or_b64 s[4:5], s[30:31], s[4:5]
	v_add_u32_e32 v5, -1, v13
	s_and_b64 s[4:5], exec, s[4:5]
	v_subrev_u32_e32 v23, s38, v23
	s_or_b64 s[28:29], s[4:5], s[28:29]
	v_mov_b32_e32 v13, v5
	s_andn2_b64 exec, exec, s[28:29]
	s_cbranch_execz .LBB79_27
.LBB79_9:                               ; =>This Loop Header: Depth=1
                                        ;     Child Loop BB79_12 Depth 2
                                        ;     Child Loop BB79_20 Depth 2
	v_ashrrev_i32_e32 v14, 31, v13
	v_lshlrev_b64 v[5:6], 2, v[13:14]
	v_mul_lo_u32 v15, v13, s33
	v_add_co_u32_e32 v5, vcc, s20, v5
	v_addc_co_u32_e32 v6, vcc, v25, v6, vcc
	global_load_dword v14, v[5:6], off
	s_mov_b64 s[4:5], 0
	v_mov_b32_e32 v26, v24
	v_mov_b32_e32 v27, v20
	s_branch .LBB79_12
.LBB79_10:                              ;   in Loop: Header=BB79_12 Depth=2
	v_ashrrev_i32_e32 v6, 31, v5
	v_lshlrev_b64 v[5:6], 4, v[5:6]
	v_mov_b32_e32 v7, s23
	v_add_co_u32_e32 v5, vcc, s22, v5
	v_addc_co_u32_e32 v6, vcc, v7, v6, vcc
	global_load_dwordx4 v[5:8], v[5:6], off
.LBB79_11:                              ;   in Loop: Header=BB79_12 Depth=2
	s_or_b64 exec, exec, s[30:31]
	s_waitcnt vmcnt(0)
	ds_write_b128 v26, v[5:8]
	v_add_u32_e32 v5, 4, v27
	v_cmp_lt_u32_e32 vcc, 11, v27
	v_add_u32_e32 v26, 0x400, v26
	s_or_b64 s[4:5], vcc, s[4:5]
	v_mov_b32_e32 v27, v5
	s_andn2_b64 exec, exec, s[4:5]
	s_cbranch_execz .LBB79_17
.LBB79_12:                              ;   Parent Loop BB79_9 Depth=1
                                        ; =>  This Inner Loop Header: Depth=2
	v_cmp_gt_i32_e32 vcc, s33, v27
	v_mov_b32_e32 v5, 0
	v_mov_b32_e32 v7, 0
	;; [unrolled: 1-line block ×4, first 2 shown]
	s_and_b64 s[34:35], s[6:7], vcc
	s_and_saveexec_b64 s[30:31], s[34:35]
	s_cbranch_execz .LBB79_11
; %bb.13:                               ;   in Loop: Header=BB79_12 Depth=2
	s_and_b64 vcc, exec, s[14:15]
	s_cbranch_vccz .LBB79_15
; %bb.14:                               ;   in Loop: Header=BB79_12 Depth=2
	v_add_u32_e32 v5, v27, v15
	v_mad_u64_u32 v[5:6], s[34:35], v5, s33, v[0:1]
	s_cbranch_execnz .LBB79_10
	s_branch .LBB79_16
.LBB79_15:                              ;   in Loop: Header=BB79_12 Depth=2
                                        ; implicit-def: $vgpr5
.LBB79_16:                              ;   in Loop: Header=BB79_12 Depth=2
	v_add_u32_e32 v5, v23, v27
	s_branch .LBB79_10
.LBB79_17:                              ;   in Loop: Header=BB79_9 Depth=1
	s_or_b64 exec, exec, s[4:5]
	v_subrev_u32_e32 v14, s12, v14
	v_cmp_gt_i32_e32 vcc, v14, v9
	s_and_saveexec_b64 s[30:31], vcc
	s_cbranch_execz .LBB79_8
; %bb.18:                               ;   in Loop: Header=BB79_9 Depth=1
	v_ashrrev_i32_e32 v15, 31, v14
	v_lshlrev_b64 v[5:6], 2, v[14:15]
	v_mov_b32_e32 v7, s19
	v_add_co_u32_e64 v5, s[4:5], s18, v5
	v_addc_co_u32_e64 v6, s[4:5], v7, v6, s[4:5]
	global_load_dword v7, v[5:6], off glc
	s_waitcnt vmcnt(0)
	v_cmp_eq_u32_e64 s[4:5], 0, v7
	s_and_saveexec_b64 s[34:35], s[4:5]
	s_cbranch_execz .LBB79_21
; %bb.19:                               ;   in Loop: Header=BB79_9 Depth=1
	s_mov_b64 s[36:37], 0
.LBB79_20:                              ;   Parent Loop BB79_9 Depth=1
                                        ; =>  This Inner Loop Header: Depth=2
	global_load_dword v7, v[5:6], off glc
	s_waitcnt vmcnt(0)
	v_cmp_ne_u32_e64 s[4:5], 0, v7
	s_or_b64 s[36:37], s[4:5], s[36:37]
	s_andn2_b64 exec, exec, s[36:37]
	s_cbranch_execnz .LBB79_20
.LBB79_21:                              ;   in Loop: Header=BB79_9 Depth=1
	s_or_b64 exec, exec, s[34:35]
	s_waitcnt lgkmcnt(0)
	buffer_wbinvl1_vol
	s_and_saveexec_b64 s[34:35], s[8:9]
	s_cbranch_execz .LBB79_25
; %bb.22:                               ;   in Loop: Header=BB79_9 Depth=1
	v_mov_b32_e32 v7, 0
	v_mov_b32_e32 v5, 0
	;; [unrolled: 1-line block ×4, first 2 shown]
	s_and_saveexec_b64 s[36:37], s[10:11]
	s_cbranch_execz .LBB79_24
; %bb.23:                               ;   in Loop: Header=BB79_9 Depth=1
	v_mad_u64_u32 v[5:6], s[4:5], v14, s33, v[12:13]
	v_mov_b32_e32 v7, s17
	v_ashrrev_i32_e32 v6, 31, v5
	v_lshlrev_b64 v[5:6], 4, v[5:6]
	v_add_co_u32_e64 v5, s[4:5], s16, v5
	v_addc_co_u32_e64 v6, s[4:5], v7, v6, s[4:5]
	global_load_dwordx4 v[5:8], v[5:6], off
.LBB79_24:                              ;   in Loop: Header=BB79_9 Depth=1
	s_or_b64 exec, exec, s[36:37]
	s_waitcnt vmcnt(0)
	ds_write_b128 v21, v[5:8]
.LBB79_25:                              ;   in Loop: Header=BB79_9 Depth=1
	s_or_b64 exec, exec, s[34:35]
	s_waitcnt lgkmcnt(0)
	s_and_saveexec_b64 s[4:5], s[10:11]
	s_cbranch_execz .LBB79_7
; %bb.26:                               ;   in Loop: Header=BB79_9 Depth=1
	ds_read_b128 v[5:8], v22
	ds_read_b128 v[26:29], v19
	ds_read_b128 v[30:33], v19 offset:16
	ds_read_b128 v[34:37], v22 offset:256
	s_waitcnt lgkmcnt(2)
	v_fma_f64 v[1:2], -v[5:6], v[26:27], v[1:2]
	v_fma_f64 v[3:4], -v[7:8], v[26:27], v[3:4]
	v_fma_f64 v[1:2], v[7:8], v[28:29], v[1:2]
	v_fma_f64 v[3:4], -v[5:6], v[28:29], v[3:4]
	s_waitcnt lgkmcnt(0)
	v_fma_f64 v[1:2], -v[34:35], v[30:31], v[1:2]
	v_fma_f64 v[3:4], -v[36:37], v[30:31], v[3:4]
	v_fma_f64 v[36:37], v[36:37], v[32:33], v[1:2]
	v_fma_f64 v[34:35], -v[34:35], v[32:33], v[3:4]
	ds_read_b128 v[1:4], v22 offset:512
	ds_read_b128 v[5:8], v19 offset:32
	ds_read_b128 v[26:29], v19 offset:48
	ds_read_b128 v[30:33], v22 offset:768
	s_waitcnt lgkmcnt(2)
	v_fma_f64 v[36:37], -v[1:2], v[5:6], v[36:37]
	v_fma_f64 v[5:6], -v[3:4], v[5:6], v[34:35]
	v_fma_f64 v[3:4], v[3:4], v[7:8], v[36:37]
	v_fma_f64 v[1:2], -v[1:2], v[7:8], v[5:6]
	s_waitcnt lgkmcnt(0)
	v_fma_f64 v[3:4], -v[30:31], v[26:27], v[3:4]
	v_fma_f64 v[1:2], -v[32:33], v[26:27], v[1:2]
	v_fma_f64 v[34:35], v[32:33], v[28:29], v[3:4]
	v_fma_f64 v[36:37], -v[30:31], v[28:29], v[1:2]
	ds_read_b128 v[1:4], v19 offset:64
	ds_read_b128 v[5:8], v22 offset:1024
	;; [unrolled: 14-line block ×7, first 2 shown]
	ds_read_b128 v[26:29], v22 offset:3840
	ds_read_b128 v[30:33], v19 offset:240
	s_waitcnt lgkmcnt(2)
	v_fma_f64 v[34:35], -v[5:6], v[1:2], v[34:35]
	v_fma_f64 v[1:2], -v[7:8], v[1:2], v[36:37]
	v_fma_f64 v[7:8], v[7:8], v[3:4], v[34:35]
	v_fma_f64 v[1:2], -v[5:6], v[3:4], v[1:2]
	s_waitcnt lgkmcnt(0)
	v_fma_f64 v[3:4], -v[26:27], v[30:31], v[7:8]
	v_fma_f64 v[5:6], -v[28:29], v[30:31], v[1:2]
	v_fma_f64 v[1:2], v[28:29], v[32:33], v[3:4]
	v_fma_f64 v[3:4], -v[26:27], v[32:33], v[5:6]
	s_branch .LBB79_7
.LBB79_27:
	s_or_b64 exec, exec, s[28:29]
.LBB79_28:
	s_or_b64 exec, exec, s[26:27]
	s_cmp_gt_i32 s33, 0
	v_cmp_eq_u32_e32 vcc, v14, v9
	s_cselect_b64 s[4:5], -1, 0
	s_and_b64 s[6:7], s[4:5], vcc
	s_mov_b64 s[4:5], 0
	s_and_saveexec_b64 s[8:9], s[6:7]
	s_cbranch_execnz .LBB79_32
; %bb.29:
	s_or_b64 exec, exec, s[8:9]
	s_and_saveexec_b64 s[6:7], s[10:11]
	s_cbranch_execnz .LBB79_46
.LBB79_30:
	s_or_b64 exec, exec, s[6:7]
	v_cmp_eq_u32_e32 vcc, 0, v12
	s_and_b64 exec, exec, vcc
	s_cbranch_execnz .LBB79_47
.LBB79_31:
	s_endpgm
.LBB79_32:
	v_lshl_add_u32 v5, s33, 8, v16
	s_movk_i32 s6, 0xff00
	s_cmp_eq_u32 s13, 0
	v_add3_u32 v17, v5, v17, s6
	s_mul_i32 s6, s33, 0x110
	s_cselect_b64 s[4:5], -1, 0
	v_mbcnt_lo_u32_b32 v0, -1, 0
	v_add_u32_e32 v5, s6, v16
	v_mbcnt_hi_u32_b32 v0, -1, v0
	v_add_u32_e32 v18, 0xfffffef0, v5
	v_cndmask_b32_e64 v5, 0, 1, s[4:5]
	v_and_b32_e32 v0, 64, v0
	s_add_i32 s13, s33, -1
	s_mov_b64 s[20:21], 0
	v_cmp_ne_u32_e64 s[6:7], 1, v5
                                        ; implicit-def: $sgpr14_sgpr15
	s_and_b64 vcc, exec, s[6:7]
	s_cbranch_vccz .LBB79_34
.LBB79_33:
	v_mov_b32_e32 v5, 0
	v_mov_b32_e32 v7, 0
	;; [unrolled: 1-line block ×4, first 2 shown]
	s_branch .LBB79_35
.LBB79_34:
	ds_read_b128 v[5:8], v18
.LBB79_35:
	s_waitcnt lgkmcnt(0)
	v_cmp_neq_f64_e32 vcc, 0, v[5:6]
	v_cmp_neq_f64_e64 s[4:5], 0, v[7:8]
	v_and_or_b32 v13, s13, 63, v0
	v_lshlrev_b32_e32 v14, 2, v13
	ds_bpermute_b32 v15, v14, v1
	ds_bpermute_b32 v16, v14, v2
	;; [unrolled: 1-line block ×4, first 2 shown]
	s_or_b64 s[14:15], s[14:15], exec
	s_or_b64 s[22:23], vcc, s[4:5]
	s_and_saveexec_b64 s[4:5], s[22:23]
	s_cbranch_execz .LBB79_37
; %bb.36:
	v_mul_f64 v[19:20], v[7:8], v[7:8]
	s_andn2_b64 s[14:15], s[14:15], exec
	s_and_b64 s[20:21], s[20:21], exec
	s_or_b64 s[14:15], s[14:15], s[20:21]
	v_fma_f64 v[19:20], v[5:6], v[5:6], v[19:20]
	v_div_scale_f64 v[21:22], s[22:23], v[19:20], v[19:20], 1.0
	v_rcp_f64_e32 v[23:24], v[21:22]
	v_fma_f64 v[25:26], -v[21:22], v[23:24], 1.0
	v_fma_f64 v[23:24], v[23:24], v[25:26], v[23:24]
	v_div_scale_f64 v[25:26], vcc, 1.0, v[19:20], 1.0
	v_fma_f64 v[27:28], -v[21:22], v[23:24], 1.0
	v_fma_f64 v[23:24], v[23:24], v[27:28], v[23:24]
	v_mul_f64 v[27:28], v[25:26], v[23:24]
	v_fma_f64 v[21:22], -v[21:22], v[27:28], v[25:26]
	v_div_fmas_f64 v[21:22], v[21:22], v[23:24], v[27:28]
	s_waitcnt lgkmcnt(0)
	v_mul_f64 v[23:24], v[7:8], v[13:14]
	v_mul_f64 v[7:8], v[7:8], -v[15:16]
	v_fma_f64 v[15:16], v[15:16], v[5:6], v[23:24]
	v_fma_f64 v[5:6], v[13:14], v[5:6], v[7:8]
	v_div_fixup_f64 v[19:20], v[21:22], v[19:20], 1.0
	v_mul_f64 v[15:16], v[19:20], v[15:16]
	v_mul_f64 v[13:14], v[19:20], v[5:6]
.LBB79_37:
	s_or_b64 exec, exec, s[4:5]
	s_and_saveexec_b64 s[4:5], s[10:11]
	s_cbranch_execz .LBB79_43
; %bb.38:
	v_cmp_le_i32_e32 vcc, s13, v12
	s_and_saveexec_b64 s[20:21], vcc
	s_xor_b64 s[20:21], exec, s[20:21]
	s_cbranch_execz .LBB79_40
; %bb.39:
	v_cmp_eq_u32_e32 vcc, s13, v12
	s_waitcnt lgkmcnt(2)
	v_cndmask_b32_e32 v2, v2, v16, vcc
	v_cndmask_b32_e32 v1, v1, v15, vcc
	s_waitcnt lgkmcnt(0)
	v_cndmask_b32_e32 v4, v4, v14, vcc
	v_cndmask_b32_e32 v3, v3, v13, vcc
                                        ; implicit-def: $vgpr15_vgpr16
                                        ; implicit-def: $vgpr13_vgpr14
.LBB79_40:
	s_andn2_saveexec_b64 s[20:21], s[20:21]
	s_cbranch_execz .LBB79_42
; %bb.41:
	ds_read_b128 v[5:8], v17
	s_waitcnt lgkmcnt(0)
	v_fma_f64 v[1:2], -v[15:16], v[5:6], v[1:2]
	v_fma_f64 v[3:4], -v[13:14], v[5:6], v[3:4]
	v_fma_f64 v[1:2], v[13:14], v[7:8], v[1:2]
	v_fma_f64 v[3:4], -v[15:16], v[7:8], v[3:4]
.LBB79_42:
	s_or_b64 exec, exec, s[20:21]
.LBB79_43:
	s_or_b64 exec, exec, s[4:5]
	s_add_i32 s4, s13, -1
	s_add_i32 s5, s13, 1
	v_add_u32_e32 v17, 0xffffff00, v17
	s_cmp_gt_u32 s5, 1
	v_add_u32_e32 v18, 0xfffffef0, v18
	s_cbranch_scc0 .LBB79_45
; %bb.44:
	s_mov_b64 s[20:21], s[14:15]
	s_mov_b32 s13, s4
	s_and_b64 vcc, exec, s[6:7]
	s_cbranch_vccnz .LBB79_33
	s_branch .LBB79_34
.LBB79_45:
	s_and_b64 s[4:5], s[14:15], exec
	s_or_b64 exec, exec, s[8:9]
	s_and_saveexec_b64 s[6:7], s[10:11]
	s_cbranch_execz .LBB79_30
.LBB79_46:
	s_waitcnt lgkmcnt(0)
	v_mad_u64_u32 v[5:6], s[8:9], v9, s33, v[12:13]
	v_mov_b32_e32 v0, s17
	v_ashrrev_i32_e32 v6, 31, v5
	v_lshlrev_b64 v[5:6], 4, v[5:6]
	v_add_co_u32_e32 v5, vcc, s16, v5
	v_addc_co_u32_e32 v6, vcc, v0, v6, vcc
	global_store_dwordx4 v[5:6], v[1:4], off
	s_or_b64 exec, exec, s[6:7]
	v_cmp_eq_u32_e32 vcc, 0, v12
	s_and_b64 exec, exec, vcc
	s_cbranch_execz .LBB79_31
.LBB79_47:
	v_mov_b32_e32 v1, s19
	v_add_co_u32_e32 v0, vcc, s18, v10
	v_addc_co_u32_e32 v1, vcc, v1, v11, vcc
	v_mov_b32_e32 v2, 1
	s_waitcnt vmcnt(0) lgkmcnt(0)
	global_store_dword v[0:1], v2, off
	s_and_b64 exec, exec, s[4:5]
	s_cbranch_execz .LBB79_31
; %bb.48:
	s_mov_b64 s[4:5], exec
	v_add_u32_e32 v0, s12, v9
	s_brev_b32 s6, -2
.LBB79_49:                              ; =>This Inner Loop Header: Depth=1
	s_ff1_i32_b64 s7, s[4:5]
	v_readlane_b32 s10, v0, s7
	s_lshl_b64 s[8:9], 1, s7
	s_min_i32 s6, s6, s10
	s_andn2_b64 s[4:5], s[4:5], s[8:9]
	s_cmp_lg_u64 s[4:5], 0
	s_cbranch_scc1 .LBB79_49
; %bb.50:
	v_mbcnt_lo_u32_b32 v0, exec_lo, 0
	v_mbcnt_hi_u32_b32 v0, exec_hi, v0
	v_cmp_eq_u32_e32 vcc, 0, v0
	s_and_saveexec_b64 s[4:5], vcc
	s_xor_b64 s[4:5], exec, s[4:5]
	s_cbranch_execz .LBB79_31
; %bb.51:
	v_mov_b32_e32 v0, 0
	v_mov_b32_e32 v1, s6
	global_atomic_smin v0, v1, s[24:25]
	s_endpgm
	.section	.rodata,"a",@progbits
	.p2align	6, 0x0
	.amdhsa_kernel _ZN9rocsparseL18bsrsv_upper_sharedILj128ELj64ELi16ELb0E21rocsparse_complex_numIdEEEviNS_24const_host_device_scalarIT3_EEPKiS7_PKS4_iS9_PS4_PiSB_SB_21rocsparse_index_base_20rocsparse_diag_type_20rocsparse_direction_b
		.amdhsa_group_segment_fixed_size 8704
		.amdhsa_private_segment_fixed_size 16
		.amdhsa_kernarg_size 112
		.amdhsa_user_sgpr_count 8
		.amdhsa_user_sgpr_private_segment_buffer 1
		.amdhsa_user_sgpr_dispatch_ptr 0
		.amdhsa_user_sgpr_queue_ptr 0
		.amdhsa_user_sgpr_kernarg_segment_ptr 1
		.amdhsa_user_sgpr_dispatch_id 0
		.amdhsa_user_sgpr_flat_scratch_init 1
		.amdhsa_user_sgpr_private_segment_size 0
		.amdhsa_uses_dynamic_stack 0
		.amdhsa_system_sgpr_private_segment_wavefront_offset 1
		.amdhsa_system_sgpr_workgroup_id_x 1
		.amdhsa_system_sgpr_workgroup_id_y 0
		.amdhsa_system_sgpr_workgroup_id_z 0
		.amdhsa_system_sgpr_workgroup_info 0
		.amdhsa_system_vgpr_workitem_id 0
		.amdhsa_next_free_vgpr 49
		.amdhsa_next_free_sgpr 96
		.amdhsa_reserve_vcc 1
		.amdhsa_reserve_flat_scratch 1
		.amdhsa_float_round_mode_32 0
		.amdhsa_float_round_mode_16_64 0
		.amdhsa_float_denorm_mode_32 3
		.amdhsa_float_denorm_mode_16_64 3
		.amdhsa_dx10_clamp 1
		.amdhsa_ieee_mode 1
		.amdhsa_fp16_overflow 0
		.amdhsa_exception_fp_ieee_invalid_op 0
		.amdhsa_exception_fp_denorm_src 0
		.amdhsa_exception_fp_ieee_div_zero 0
		.amdhsa_exception_fp_ieee_overflow 0
		.amdhsa_exception_fp_ieee_underflow 0
		.amdhsa_exception_fp_ieee_inexact 0
		.amdhsa_exception_int_div_zero 0
	.end_amdhsa_kernel
	.section	.text._ZN9rocsparseL18bsrsv_upper_sharedILj128ELj64ELi16ELb0E21rocsparse_complex_numIdEEEviNS_24const_host_device_scalarIT3_EEPKiS7_PKS4_iS9_PS4_PiSB_SB_21rocsparse_index_base_20rocsparse_diag_type_20rocsparse_direction_b,"axG",@progbits,_ZN9rocsparseL18bsrsv_upper_sharedILj128ELj64ELi16ELb0E21rocsparse_complex_numIdEEEviNS_24const_host_device_scalarIT3_EEPKiS7_PKS4_iS9_PS4_PiSB_SB_21rocsparse_index_base_20rocsparse_diag_type_20rocsparse_direction_b,comdat
.Lfunc_end79:
	.size	_ZN9rocsparseL18bsrsv_upper_sharedILj128ELj64ELi16ELb0E21rocsparse_complex_numIdEEEviNS_24const_host_device_scalarIT3_EEPKiS7_PKS4_iS9_PS4_PiSB_SB_21rocsparse_index_base_20rocsparse_diag_type_20rocsparse_direction_b, .Lfunc_end79-_ZN9rocsparseL18bsrsv_upper_sharedILj128ELj64ELi16ELb0E21rocsparse_complex_numIdEEEviNS_24const_host_device_scalarIT3_EEPKiS7_PKS4_iS9_PS4_PiSB_SB_21rocsparse_index_base_20rocsparse_diag_type_20rocsparse_direction_b
                                        ; -- End function
	.set _ZN9rocsparseL18bsrsv_upper_sharedILj128ELj64ELi16ELb0E21rocsparse_complex_numIdEEEviNS_24const_host_device_scalarIT3_EEPKiS7_PKS4_iS9_PS4_PiSB_SB_21rocsparse_index_base_20rocsparse_diag_type_20rocsparse_direction_b.num_vgpr, 38
	.set _ZN9rocsparseL18bsrsv_upper_sharedILj128ELj64ELi16ELb0E21rocsparse_complex_numIdEEEviNS_24const_host_device_scalarIT3_EEPKiS7_PKS4_iS9_PS4_PiSB_SB_21rocsparse_index_base_20rocsparse_diag_type_20rocsparse_direction_b.num_agpr, 0
	.set _ZN9rocsparseL18bsrsv_upper_sharedILj128ELj64ELi16ELb0E21rocsparse_complex_numIdEEEviNS_24const_host_device_scalarIT3_EEPKiS7_PKS4_iS9_PS4_PiSB_SB_21rocsparse_index_base_20rocsparse_diag_type_20rocsparse_direction_b.numbered_sgpr, 39
	.set _ZN9rocsparseL18bsrsv_upper_sharedILj128ELj64ELi16ELb0E21rocsparse_complex_numIdEEEviNS_24const_host_device_scalarIT3_EEPKiS7_PKS4_iS9_PS4_PiSB_SB_21rocsparse_index_base_20rocsparse_diag_type_20rocsparse_direction_b.num_named_barrier, 0
	.set _ZN9rocsparseL18bsrsv_upper_sharedILj128ELj64ELi16ELb0E21rocsparse_complex_numIdEEEviNS_24const_host_device_scalarIT3_EEPKiS7_PKS4_iS9_PS4_PiSB_SB_21rocsparse_index_base_20rocsparse_diag_type_20rocsparse_direction_b.private_seg_size, 16
	.set _ZN9rocsparseL18bsrsv_upper_sharedILj128ELj64ELi16ELb0E21rocsparse_complex_numIdEEEviNS_24const_host_device_scalarIT3_EEPKiS7_PKS4_iS9_PS4_PiSB_SB_21rocsparse_index_base_20rocsparse_diag_type_20rocsparse_direction_b.uses_vcc, 1
	.set _ZN9rocsparseL18bsrsv_upper_sharedILj128ELj64ELi16ELb0E21rocsparse_complex_numIdEEEviNS_24const_host_device_scalarIT3_EEPKiS7_PKS4_iS9_PS4_PiSB_SB_21rocsparse_index_base_20rocsparse_diag_type_20rocsparse_direction_b.uses_flat_scratch, 1
	.set _ZN9rocsparseL18bsrsv_upper_sharedILj128ELj64ELi16ELb0E21rocsparse_complex_numIdEEEviNS_24const_host_device_scalarIT3_EEPKiS7_PKS4_iS9_PS4_PiSB_SB_21rocsparse_index_base_20rocsparse_diag_type_20rocsparse_direction_b.has_dyn_sized_stack, 0
	.set _ZN9rocsparseL18bsrsv_upper_sharedILj128ELj64ELi16ELb0E21rocsparse_complex_numIdEEEviNS_24const_host_device_scalarIT3_EEPKiS7_PKS4_iS9_PS4_PiSB_SB_21rocsparse_index_base_20rocsparse_diag_type_20rocsparse_direction_b.has_recursion, 0
	.set _ZN9rocsparseL18bsrsv_upper_sharedILj128ELj64ELi16ELb0E21rocsparse_complex_numIdEEEviNS_24const_host_device_scalarIT3_EEPKiS7_PKS4_iS9_PS4_PiSB_SB_21rocsparse_index_base_20rocsparse_diag_type_20rocsparse_direction_b.has_indirect_call, 0
	.section	.AMDGPU.csdata,"",@progbits
; Kernel info:
; codeLenInByte = 2700
; TotalNumSgprs: 45
; NumVgprs: 38
; ScratchSize: 16
; MemoryBound: 1
; FloatMode: 240
; IeeeMode: 1
; LDSByteSize: 8704 bytes/workgroup (compile time only)
; SGPRBlocks: 12
; VGPRBlocks: 12
; NumSGPRsForWavesPerEU: 102
; NumVGPRsForWavesPerEU: 49
; Occupancy: 4
; WaveLimiterHint : 1
; COMPUTE_PGM_RSRC2:SCRATCH_EN: 1
; COMPUTE_PGM_RSRC2:USER_SGPR: 8
; COMPUTE_PGM_RSRC2:TRAP_HANDLER: 0
; COMPUTE_PGM_RSRC2:TGID_X_EN: 1
; COMPUTE_PGM_RSRC2:TGID_Y_EN: 0
; COMPUTE_PGM_RSRC2:TGID_Z_EN: 0
; COMPUTE_PGM_RSRC2:TIDIG_COMP_CNT: 0
	.section	.text._ZN9rocsparseL18bsrsv_lower_sharedILj128ELj64ELi32ELb1E21rocsparse_complex_numIdEEEviNS_24const_host_device_scalarIT3_EEPKiS7_PKS4_iS9_PS4_PiSB_SB_21rocsparse_index_base_20rocsparse_diag_type_20rocsparse_direction_b,"axG",@progbits,_ZN9rocsparseL18bsrsv_lower_sharedILj128ELj64ELi32ELb1E21rocsparse_complex_numIdEEEviNS_24const_host_device_scalarIT3_EEPKiS7_PKS4_iS9_PS4_PiSB_SB_21rocsparse_index_base_20rocsparse_diag_type_20rocsparse_direction_b,comdat
	.globl	_ZN9rocsparseL18bsrsv_lower_sharedILj128ELj64ELi32ELb1E21rocsparse_complex_numIdEEEviNS_24const_host_device_scalarIT3_EEPKiS7_PKS4_iS9_PS4_PiSB_SB_21rocsparse_index_base_20rocsparse_diag_type_20rocsparse_direction_b ; -- Begin function _ZN9rocsparseL18bsrsv_lower_sharedILj128ELj64ELi32ELb1E21rocsparse_complex_numIdEEEviNS_24const_host_device_scalarIT3_EEPKiS7_PKS4_iS9_PS4_PiSB_SB_21rocsparse_index_base_20rocsparse_diag_type_20rocsparse_direction_b
	.p2align	8
	.type	_ZN9rocsparseL18bsrsv_lower_sharedILj128ELj64ELi32ELb1E21rocsparse_complex_numIdEEEviNS_24const_host_device_scalarIT3_EEPKiS7_PKS4_iS9_PS4_PiSB_SB_21rocsparse_index_base_20rocsparse_diag_type_20rocsparse_direction_b,@function
_ZN9rocsparseL18bsrsv_lower_sharedILj128ELj64ELi32ELb1E21rocsparse_complex_numIdEEEviNS_24const_host_device_scalarIT3_EEPKiS7_PKS4_iS9_PS4_PiSB_SB_21rocsparse_index_base_20rocsparse_diag_type_20rocsparse_direction_b: ; @_ZN9rocsparseL18bsrsv_lower_sharedILj128ELj64ELi32ELb1E21rocsparse_complex_numIdEEEviNS_24const_host_device_scalarIT3_EEPKiS7_PKS4_iS9_PS4_PiSB_SB_21rocsparse_index_base_20rocsparse_diag_type_20rocsparse_direction_b
; %bb.0:
	s_add_u32 flat_scratch_lo, s6, s9
	s_load_dwordx4 s[12:15], s[4:5], 0x60
	s_load_dwordx4 s[16:19], s[4:5], 0x8
	s_addc_u32 flat_scratch_hi, s7, 0
	s_add_u32 s0, s0, s9
	s_addc_u32 s1, s1, 0
	s_waitcnt lgkmcnt(0)
	s_bitcmp1_b32 s15, 0
	s_cselect_b64 s[10:11], -1, 0
	s_mov_b64 s[6:7], src_private_base
	v_mov_b32_e32 v1, s17
	s_and_b64 vcc, s[10:11], exec
	buffer_store_dword v1, off, s[0:3], 0 offset:4
	v_mov_b32_e32 v1, s16
	s_cselect_b32 s6, s7, s17
	s_cselect_b32 s7, 0, s16
	buffer_store_dword v1, off, s[0:3], 0
	v_mov_b32_e32 v1, s7
	v_mov_b32_e32 v2, s6
	flat_load_dwordx2 v[1:2], v[1:2]
	v_mov_b32_e32 v7, s18
	v_mov_b32_e32 v8, s19
	s_cbranch_vccnz .LBB80_2
; %bb.1:
	v_mov_b32_e32 v3, s16
	v_mov_b32_e32 v4, s17
	flat_load_dwordx2 v[7:8], v[3:4] offset:8
.LBB80_2:
	s_load_dword s9, s[4:5], 0x0
	s_lshl_b32 s6, s8, 1
	v_lshrrev_b32_e32 v13, 6, v0
	s_and_b32 s6, s6, 0x3fffffe
	v_or_b32_e32 v3, s6, v13
	s_waitcnt lgkmcnt(0)
	v_cmp_gt_i32_e32 vcc, s9, v3
	s_and_saveexec_b64 s[6:7], vcc
	s_cbranch_execz .LBB80_33
; %bb.3:
	s_load_dwordx2 s[6:7], s[4:5], 0x50
	s_load_dwordx4 s[16:19], s[4:5], 0x40
	v_lshlrev_b32_e32 v3, 2, v3
	v_and_b32_e32 v12, 63, v0
	v_mov_b32_e32 v5, 0
	s_waitcnt lgkmcnt(0)
	global_load_dword v9, v3, s[6:7]
	s_load_dwordx2 s[6:7], s[4:5], 0x18
	s_load_dword s33, s[4:5], 0x30
	v_mov_b32_e32 v6, 0
	s_waitcnt lgkmcnt(0)
	v_mov_b32_e32 v4, s7
	v_cmp_gt_i32_e64 s[10:11], s33, v12
	s_waitcnt vmcnt(0)
	v_ashrrev_i32_e32 v10, 31, v9
	v_lshlrev_b64 v[10:11], 2, v[9:10]
	v_add_co_u32_e32 v3, vcc, s6, v10
	v_addc_co_u32_e32 v4, vcc, v4, v11, vcc
	global_load_dwordx2 v[15:16], v[3:4], off
	v_mov_b32_e32 v3, 0
	v_mov_b32_e32 v4, 0
	s_and_saveexec_b64 s[6:7], s[10:11]
	s_cbranch_execz .LBB80_5
; %bb.4:
	v_mad_u64_u32 v[3:4], s[20:21], v9, s33, v[12:13]
	s_load_dwordx2 s[20:21], s[4:5], 0x38
	v_ashrrev_i32_e32 v4, 31, v3
	v_lshlrev_b64 v[3:4], 4, v[3:4]
	s_waitcnt lgkmcnt(0)
	v_mov_b32_e32 v5, s21
	v_add_co_u32_e32 v3, vcc, s20, v3
	v_addc_co_u32_e32 v4, vcc, v5, v4, vcc
	global_load_dwordx4 v[3:6], v[3:4], off
.LBB80_5:
	s_or_b64 exec, exec, s[6:7]
	s_waitcnt vmcnt(0)
	v_mul_f64 v[17:18], v[5:6], -v[7:8]
	v_mul_f64 v[5:6], v[1:2], v[5:6]
	s_load_dwordx2 s[24:25], s[4:5], 0x58
	v_cmp_lt_i32_e32 vcc, v15, v16
	v_mov_b32_e32 v14, s9
	v_fma_f64 v[1:2], v[1:2], v[3:4], v[17:18]
	v_fma_f64 v[3:4], v[7:8], v[3:4], v[5:6]
	v_lshlrev_b32_e32 v17, 14, v13
	s_and_saveexec_b64 s[26:27], vcc
	s_cbranch_execz .LBB80_30
; %bb.6:
	v_mov_b32_e32 v5, 0x8000
	v_lshl_or_b32 v18, v13, 9, v5
	v_subrev_u32_e32 v13, s12, v15
	v_and_b32_e32 v0, 31, v0
	s_load_dwordx4 s[20:23], s[4:5], 0x20
	v_mad_u64_u32 v[5:6], s[4:5], s33, v13, v[0:1]
	v_lshrrev_b32_e32 v19, 5, v12
	v_lshlrev_b32_e32 v6, 4, v12
	v_mul_lo_u32 v22, s33, v5
	s_cmp_lg_u32 s14, 0
	v_add_u32_e32 v20, v18, v6
	v_add_u32_e32 v21, v17, v6
	v_lshlrev_b32_e32 v5, 9, v19
	v_lshlrev_b32_e32 v6, 4, v0
	v_subrev_u32_e32 v16, s12, v16
	v_cmp_gt_i32_e64 s[6:7], s33, v0
	s_cselect_b64 s[14:15], -1, 0
	v_cmp_gt_u32_e64 s[8:9], 32, v12
	s_mul_i32 s38, s33, s33
	v_add3_u32 v23, v17, v5, v6
	s_mov_b64 s[28:29], 0
	s_waitcnt lgkmcnt(0)
	v_mov_b32_e32 v24, s21
	s_branch .LBB80_9
.LBB80_7:                               ;   in Loop: Header=BB80_9 Depth=1
	s_or_b64 exec, exec, s[4:5]
.LBB80_8:                               ;   in Loop: Header=BB80_9 Depth=1
	s_or_b64 exec, exec, s[30:31]
	v_add_u32_e32 v13, 1, v13
	v_cmp_ge_i32_e64 s[4:5], v13, v16
	s_xor_b64 s[30:31], vcc, -1
	s_or_b64 s[4:5], s[30:31], s[4:5]
	s_and_b64 s[4:5], exec, s[4:5]
	s_or_b64 s[28:29], s[4:5], s[28:29]
	v_add_u32_e32 v22, s38, v22
	s_andn2_b64 exec, exec, s[28:29]
	s_cbranch_execz .LBB80_29
.LBB80_9:                               ; =>This Loop Header: Depth=1
                                        ;     Child Loop BB80_12 Depth 2
                                        ;     Child Loop BB80_21 Depth 2
                                        ;       Child Loop BB80_22 Depth 3
	v_ashrrev_i32_e32 v14, 31, v13
	v_lshlrev_b64 v[5:6], 2, v[13:14]
	v_mul_lo_u32 v15, v13, s33
	v_add_co_u32_e32 v5, vcc, s20, v5
	v_addc_co_u32_e32 v6, vcc, v24, v6, vcc
	global_load_dword v14, v[5:6], off
	s_mov_b64 s[4:5], 0
	v_mov_b32_e32 v25, v23
	v_mov_b32_e32 v26, v19
	s_branch .LBB80_12
.LBB80_10:                              ;   in Loop: Header=BB80_12 Depth=2
	v_ashrrev_i32_e32 v6, 31, v5
	v_lshlrev_b64 v[5:6], 4, v[5:6]
	v_mov_b32_e32 v7, s23
	v_add_co_u32_e32 v5, vcc, s22, v5
	v_addc_co_u32_e32 v6, vcc, v7, v6, vcc
	global_load_dwordx4 v[5:8], v[5:6], off
.LBB80_11:                              ;   in Loop: Header=BB80_12 Depth=2
	s_or_b64 exec, exec, s[30:31]
	s_waitcnt vmcnt(0)
	ds_write_b128 v25, v[5:8]
	v_add_u32_e32 v5, 2, v26
	v_cmp_lt_u32_e32 vcc, 29, v26
	v_add_u32_e32 v25, 0x400, v25
	s_or_b64 s[4:5], vcc, s[4:5]
	v_mov_b32_e32 v26, v5
	s_andn2_b64 exec, exec, s[4:5]
	s_cbranch_execz .LBB80_17
.LBB80_12:                              ;   Parent Loop BB80_9 Depth=1
                                        ; =>  This Inner Loop Header: Depth=2
	v_cmp_gt_i32_e32 vcc, s33, v26
	v_mov_b32_e32 v5, 0
	v_mov_b32_e32 v7, 0
	;; [unrolled: 1-line block ×4, first 2 shown]
	s_and_b64 s[34:35], s[6:7], vcc
	s_and_saveexec_b64 s[30:31], s[34:35]
	s_cbranch_execz .LBB80_11
; %bb.13:                               ;   in Loop: Header=BB80_12 Depth=2
	s_and_b64 vcc, exec, s[14:15]
	s_cbranch_vccz .LBB80_15
; %bb.14:                               ;   in Loop: Header=BB80_12 Depth=2
	v_add_u32_e32 v5, v26, v15
	v_mad_u64_u32 v[5:6], s[34:35], v5, s33, v[0:1]
	s_cbranch_execnz .LBB80_10
	s_branch .LBB80_16
.LBB80_15:                              ;   in Loop: Header=BB80_12 Depth=2
                                        ; implicit-def: $vgpr5
.LBB80_16:                              ;   in Loop: Header=BB80_12 Depth=2
	v_add_u32_e32 v5, v22, v26
	s_branch .LBB80_10
.LBB80_17:                              ;   in Loop: Header=BB80_9 Depth=1
	s_or_b64 exec, exec, s[4:5]
	v_subrev_u32_e32 v14, s12, v14
	v_cmp_lt_i32_e32 vcc, v14, v9
	s_and_saveexec_b64 s[30:31], vcc
	s_cbranch_execz .LBB80_8
; %bb.18:                               ;   in Loop: Header=BB80_9 Depth=1
	v_ashrrev_i32_e32 v15, 31, v14
	v_lshlrev_b64 v[5:6], 2, v[14:15]
	v_mov_b32_e32 v7, s19
	v_add_co_u32_e64 v5, s[4:5], s18, v5
	v_addc_co_u32_e64 v6, s[4:5], v7, v6, s[4:5]
	global_load_dword v7, v[5:6], off glc
	s_waitcnt vmcnt(0)
	v_cmp_eq_u32_e64 s[4:5], 0, v7
	s_and_saveexec_b64 s[34:35], s[4:5]
	s_cbranch_execz .LBB80_23
; %bb.19:                               ;   in Loop: Header=BB80_9 Depth=1
	s_mov_b32 s21, 0
	s_mov_b64 s[36:37], 0
	s_branch .LBB80_21
.LBB80_20:                              ;   in Loop: Header=BB80_21 Depth=2
	global_load_dword v7, v[5:6], off glc
	s_cmpk_lt_u32 s21, 0xf43
	s_cselect_b64 s[4:5], -1, 0
	s_cmp_lg_u64 s[4:5], 0
	s_addc_u32 s21, s21, 0
	s_waitcnt vmcnt(0)
	v_cmp_ne_u32_e64 s[4:5], 0, v7
	s_or_b64 s[36:37], s[4:5], s[36:37]
	s_andn2_b64 exec, exec, s[36:37]
	s_cbranch_execz .LBB80_23
.LBB80_21:                              ;   Parent Loop BB80_9 Depth=1
                                        ; =>  This Loop Header: Depth=2
                                        ;       Child Loop BB80_22 Depth 3
	s_cmp_eq_u32 s21, 0
	s_mov_b32 s4, s21
	s_cbranch_scc1 .LBB80_20
.LBB80_22:                              ;   Parent Loop BB80_9 Depth=1
                                        ;     Parent Loop BB80_21 Depth=2
                                        ; =>    This Inner Loop Header: Depth=3
	s_add_i32 s4, s4, -1
	s_cmp_eq_u32 s4, 0
	s_sleep 1
	s_cbranch_scc0 .LBB80_22
	s_branch .LBB80_20
.LBB80_23:                              ;   in Loop: Header=BB80_9 Depth=1
	s_or_b64 exec, exec, s[34:35]
	s_waitcnt lgkmcnt(0)
	buffer_wbinvl1_vol
	s_and_saveexec_b64 s[34:35], s[8:9]
	s_cbranch_execz .LBB80_27
; %bb.24:                               ;   in Loop: Header=BB80_9 Depth=1
	v_mov_b32_e32 v7, 0
	v_mov_b32_e32 v5, 0
	;; [unrolled: 1-line block ×4, first 2 shown]
	s_and_saveexec_b64 s[36:37], s[10:11]
	s_cbranch_execz .LBB80_26
; %bb.25:                               ;   in Loop: Header=BB80_9 Depth=1
	v_mad_u64_u32 v[5:6], s[4:5], v14, s33, v[12:13]
	v_mov_b32_e32 v7, s17
	v_ashrrev_i32_e32 v6, 31, v5
	v_lshlrev_b64 v[5:6], 4, v[5:6]
	v_add_co_u32_e64 v5, s[4:5], s16, v5
	v_addc_co_u32_e64 v6, s[4:5], v7, v6, s[4:5]
	global_load_dwordx4 v[5:8], v[5:6], off
.LBB80_26:                              ;   in Loop: Header=BB80_9 Depth=1
	s_or_b64 exec, exec, s[36:37]
	s_waitcnt vmcnt(0)
	ds_write_b128 v20, v[5:8]
.LBB80_27:                              ;   in Loop: Header=BB80_9 Depth=1
	s_or_b64 exec, exec, s[34:35]
	s_waitcnt lgkmcnt(0)
	s_and_saveexec_b64 s[4:5], s[10:11]
	s_cbranch_execz .LBB80_7
; %bb.28:                               ;   in Loop: Header=BB80_9 Depth=1
	ds_read_b128 v[5:8], v21
	ds_read_b128 v[25:28], v18
	ds_read_b128 v[29:32], v18 offset:16
	ds_read_b128 v[33:36], v21 offset:512
	s_waitcnt lgkmcnt(2)
	v_fma_f64 v[1:2], -v[5:6], v[25:26], v[1:2]
	v_fma_f64 v[3:4], -v[7:8], v[25:26], v[3:4]
	v_fma_f64 v[1:2], v[7:8], v[27:28], v[1:2]
	v_fma_f64 v[3:4], -v[5:6], v[27:28], v[3:4]
	s_waitcnt lgkmcnt(0)
	v_fma_f64 v[1:2], -v[33:34], v[29:30], v[1:2]
	v_fma_f64 v[3:4], -v[35:36], v[29:30], v[3:4]
	v_fma_f64 v[35:36], v[35:36], v[31:32], v[1:2]
	v_fma_f64 v[33:34], -v[33:34], v[31:32], v[3:4]
	ds_read_b128 v[1:4], v21 offset:1024
	ds_read_b128 v[5:8], v18 offset:32
	ds_read_b128 v[25:28], v18 offset:48
	ds_read_b128 v[29:32], v21 offset:1536
	s_waitcnt lgkmcnt(2)
	v_fma_f64 v[35:36], -v[1:2], v[5:6], v[35:36]
	v_fma_f64 v[5:6], -v[3:4], v[5:6], v[33:34]
	v_fma_f64 v[3:4], v[3:4], v[7:8], v[35:36]
	v_fma_f64 v[1:2], -v[1:2], v[7:8], v[5:6]
	s_waitcnt lgkmcnt(0)
	v_fma_f64 v[3:4], -v[29:30], v[25:26], v[3:4]
	v_fma_f64 v[1:2], -v[31:32], v[25:26], v[1:2]
	v_fma_f64 v[33:34], v[31:32], v[27:28], v[3:4]
	v_fma_f64 v[35:36], -v[29:30], v[27:28], v[1:2]
	ds_read_b128 v[1:4], v18 offset:64
	ds_read_b128 v[5:8], v21 offset:2048
	;; [unrolled: 14-line block ×15, first 2 shown]
	ds_read_b128 v[25:28], v21 offset:15872
	ds_read_b128 v[29:32], v18 offset:496
	s_waitcnt lgkmcnt(2)
	v_fma_f64 v[33:34], -v[5:6], v[1:2], v[33:34]
	v_fma_f64 v[1:2], -v[7:8], v[1:2], v[35:36]
	v_fma_f64 v[7:8], v[7:8], v[3:4], v[33:34]
	v_fma_f64 v[1:2], -v[5:6], v[3:4], v[1:2]
	s_waitcnt lgkmcnt(0)
	v_fma_f64 v[3:4], -v[25:26], v[29:30], v[7:8]
	v_fma_f64 v[5:6], -v[27:28], v[29:30], v[1:2]
	v_fma_f64 v[1:2], v[27:28], v[31:32], v[3:4]
	v_fma_f64 v[3:4], -v[25:26], v[31:32], v[5:6]
	s_branch .LBB80_7
.LBB80_29:
	s_or_b64 exec, exec, s[28:29]
.LBB80_30:
	s_or_b64 exec, exec, s[26:27]
	s_cmp_gt_i32 s33, 0
	v_cmp_eq_u32_e32 vcc, v14, v9
	s_cselect_b64 s[4:5], -1, 0
	s_mov_b32 s22, 0
	s_and_b64 s[6:7], s[4:5], vcc
	s_mov_b64 s[4:5], 0
	s_and_saveexec_b64 s[8:9], s[6:7]
	s_cbranch_execnz .LBB80_34
; %bb.31:
	s_or_b64 exec, exec, s[8:9]
	s_and_saveexec_b64 s[6:7], s[10:11]
	s_cbranch_execnz .LBB80_48
.LBB80_32:
	s_or_b64 exec, exec, s[6:7]
	v_cmp_eq_u32_e32 vcc, 0, v12
	s_and_b64 exec, exec, vcc
	s_cbranch_execnz .LBB80_49
.LBB80_33:
	s_endpgm
.LBB80_34:
	s_cmp_eq_u32 s13, 0
	v_mbcnt_lo_u32_b32 v0, -1, 0
	s_cselect_b64 s[4:5], -1, 0
	v_mbcnt_hi_u32_b32 v0, -1, v0
	v_cndmask_b32_e64 v5, 0, 1, s[4:5]
	v_and_b32_e32 v0, 64, v0
	v_lshl_add_u32 v18, v12, 4, v17
	s_mov_b64 s[20:21], 0
	v_cmp_ne_u32_e64 s[6:7], 1, v5
                                        ; implicit-def: $sgpr14_sgpr15
	s_and_b64 vcc, exec, s[6:7]
	s_cbranch_vccz .LBB80_36
.LBB80_35:
	v_mov_b32_e32 v5, 0
	v_mov_b32_e32 v7, 0
	;; [unrolled: 1-line block ×4, first 2 shown]
	s_branch .LBB80_37
.LBB80_36:
	ds_read_b128 v[5:8], v17
.LBB80_37:
	s_waitcnt lgkmcnt(0)
	v_cmp_neq_f64_e32 vcc, 0, v[5:6]
	v_cmp_neq_f64_e64 s[4:5], 0, v[7:8]
	v_and_or_b32 v13, s22, 63, v0
	v_lshlrev_b32_e32 v14, 2, v13
	ds_bpermute_b32 v15, v14, v1
	ds_bpermute_b32 v16, v14, v2
	;; [unrolled: 1-line block ×4, first 2 shown]
	s_or_b64 s[14:15], s[14:15], exec
	s_or_b64 s[26:27], vcc, s[4:5]
	s_and_saveexec_b64 s[4:5], s[26:27]
	s_cbranch_execz .LBB80_39
; %bb.38:
	v_mul_f64 v[19:20], v[7:8], v[7:8]
	s_andn2_b64 s[14:15], s[14:15], exec
	s_and_b64 s[20:21], s[20:21], exec
	s_or_b64 s[14:15], s[14:15], s[20:21]
	v_fma_f64 v[19:20], v[5:6], v[5:6], v[19:20]
	v_div_scale_f64 v[21:22], s[26:27], v[19:20], v[19:20], 1.0
	v_rcp_f64_e32 v[23:24], v[21:22]
	v_fma_f64 v[25:26], -v[21:22], v[23:24], 1.0
	v_fma_f64 v[23:24], v[23:24], v[25:26], v[23:24]
	v_div_scale_f64 v[25:26], vcc, 1.0, v[19:20], 1.0
	v_fma_f64 v[27:28], -v[21:22], v[23:24], 1.0
	v_fma_f64 v[23:24], v[23:24], v[27:28], v[23:24]
	v_mul_f64 v[27:28], v[25:26], v[23:24]
	v_fma_f64 v[21:22], -v[21:22], v[27:28], v[25:26]
	v_div_fmas_f64 v[21:22], v[21:22], v[23:24], v[27:28]
	s_waitcnt lgkmcnt(0)
	v_mul_f64 v[23:24], v[7:8], v[13:14]
	v_mul_f64 v[7:8], v[7:8], -v[15:16]
	v_fma_f64 v[15:16], v[15:16], v[5:6], v[23:24]
	v_fma_f64 v[5:6], v[13:14], v[5:6], v[7:8]
	v_div_fixup_f64 v[19:20], v[21:22], v[19:20], 1.0
	v_mul_f64 v[15:16], v[19:20], v[15:16]
	v_mul_f64 v[13:14], v[19:20], v[5:6]
.LBB80_39:
	s_or_b64 exec, exec, s[4:5]
	s_and_saveexec_b64 s[4:5], s[10:11]
	s_cbranch_execz .LBB80_45
; %bb.40:
	v_cmp_ge_u32_e32 vcc, s22, v12
	s_and_saveexec_b64 s[20:21], vcc
	s_xor_b64 s[20:21], exec, s[20:21]
	s_cbranch_execz .LBB80_42
; %bb.41:
	v_cmp_eq_u32_e32 vcc, s22, v12
	s_waitcnt lgkmcnt(2)
	v_cndmask_b32_e32 v2, v2, v16, vcc
	v_cndmask_b32_e32 v1, v1, v15, vcc
	s_waitcnt lgkmcnt(0)
	v_cndmask_b32_e32 v4, v4, v14, vcc
	v_cndmask_b32_e32 v3, v3, v13, vcc
                                        ; implicit-def: $vgpr15_vgpr16
                                        ; implicit-def: $vgpr13_vgpr14
.LBB80_42:
	s_andn2_saveexec_b64 s[20:21], s[20:21]
	s_cbranch_execz .LBB80_44
; %bb.43:
	ds_read_b128 v[5:8], v18
	s_waitcnt lgkmcnt(0)
	v_fma_f64 v[1:2], -v[15:16], v[5:6], v[1:2]
	v_fma_f64 v[3:4], -v[13:14], v[5:6], v[3:4]
	v_fma_f64 v[1:2], v[13:14], v[7:8], v[1:2]
	v_fma_f64 v[3:4], -v[15:16], v[7:8], v[3:4]
.LBB80_44:
	s_or_b64 exec, exec, s[20:21]
.LBB80_45:
	s_or_b64 exec, exec, s[4:5]
	s_add_i32 s22, s22, 1
	v_add_u32_e32 v18, 0x200, v18
	s_cmp_lg_u32 s33, s22
	v_add_u32_e32 v17, 0x210, v17
	s_cbranch_scc0 .LBB80_47
; %bb.46:
	s_mov_b64 s[20:21], s[14:15]
	s_and_b64 vcc, exec, s[6:7]
	s_cbranch_vccnz .LBB80_35
	s_branch .LBB80_36
.LBB80_47:
	s_and_b64 s[4:5], s[14:15], exec
	s_or_b64 exec, exec, s[8:9]
	s_and_saveexec_b64 s[6:7], s[10:11]
	s_cbranch_execz .LBB80_32
.LBB80_48:
	s_waitcnt lgkmcnt(0)
	v_mad_u64_u32 v[5:6], s[8:9], v9, s33, v[12:13]
	v_mov_b32_e32 v0, s17
	v_ashrrev_i32_e32 v6, 31, v5
	v_lshlrev_b64 v[5:6], 4, v[5:6]
	v_add_co_u32_e32 v5, vcc, s16, v5
	v_addc_co_u32_e32 v6, vcc, v0, v6, vcc
	global_store_dwordx4 v[5:6], v[1:4], off
	s_or_b64 exec, exec, s[6:7]
	v_cmp_eq_u32_e32 vcc, 0, v12
	s_and_b64 exec, exec, vcc
	s_cbranch_execz .LBB80_33
.LBB80_49:
	v_mov_b32_e32 v1, s19
	v_add_co_u32_e32 v0, vcc, s18, v10
	v_addc_co_u32_e32 v1, vcc, v1, v11, vcc
	v_mov_b32_e32 v2, 1
	s_waitcnt vmcnt(0) lgkmcnt(0)
	global_store_dword v[0:1], v2, off
	s_and_b64 exec, exec, s[4:5]
	s_cbranch_execz .LBB80_33
; %bb.50:
	s_mov_b64 s[4:5], exec
	v_add_u32_e32 v0, s12, v9
	s_brev_b32 s6, -2
.LBB80_51:                              ; =>This Inner Loop Header: Depth=1
	s_ff1_i32_b64 s7, s[4:5]
	v_readlane_b32 s10, v0, s7
	s_lshl_b64 s[8:9], 1, s7
	s_min_i32 s6, s6, s10
	s_andn2_b64 s[4:5], s[4:5], s[8:9]
	s_cmp_lg_u64 s[4:5], 0
	s_cbranch_scc1 .LBB80_51
; %bb.52:
	v_mbcnt_lo_u32_b32 v0, exec_lo, 0
	v_mbcnt_hi_u32_b32 v0, exec_hi, v0
	v_cmp_eq_u32_e32 vcc, 0, v0
	s_and_saveexec_b64 s[4:5], vcc
	s_xor_b64 s[4:5], exec, s[4:5]
	s_cbranch_execz .LBB80_33
; %bb.53:
	v_mov_b32_e32 v0, 0
	v_mov_b32_e32 v1, s6
	global_atomic_smin v0, v1, s[24:25]
	s_endpgm
	.section	.rodata,"a",@progbits
	.p2align	6, 0x0
	.amdhsa_kernel _ZN9rocsparseL18bsrsv_lower_sharedILj128ELj64ELi32ELb1E21rocsparse_complex_numIdEEEviNS_24const_host_device_scalarIT3_EEPKiS7_PKS4_iS9_PS4_PiSB_SB_21rocsparse_index_base_20rocsparse_diag_type_20rocsparse_direction_b
		.amdhsa_group_segment_fixed_size 33792
		.amdhsa_private_segment_fixed_size 16
		.amdhsa_kernarg_size 112
		.amdhsa_user_sgpr_count 8
		.amdhsa_user_sgpr_private_segment_buffer 1
		.amdhsa_user_sgpr_dispatch_ptr 0
		.amdhsa_user_sgpr_queue_ptr 0
		.amdhsa_user_sgpr_kernarg_segment_ptr 1
		.amdhsa_user_sgpr_dispatch_id 0
		.amdhsa_user_sgpr_flat_scratch_init 1
		.amdhsa_user_sgpr_private_segment_size 0
		.amdhsa_uses_dynamic_stack 0
		.amdhsa_system_sgpr_private_segment_wavefront_offset 1
		.amdhsa_system_sgpr_workgroup_id_x 1
		.amdhsa_system_sgpr_workgroup_id_y 0
		.amdhsa_system_sgpr_workgroup_id_z 0
		.amdhsa_system_sgpr_workgroup_info 0
		.amdhsa_system_vgpr_workitem_id 0
		.amdhsa_next_free_vgpr 129
		.amdhsa_next_free_sgpr 96
		.amdhsa_reserve_vcc 1
		.amdhsa_reserve_flat_scratch 1
		.amdhsa_float_round_mode_32 0
		.amdhsa_float_round_mode_16_64 0
		.amdhsa_float_denorm_mode_32 3
		.amdhsa_float_denorm_mode_16_64 3
		.amdhsa_dx10_clamp 1
		.amdhsa_ieee_mode 1
		.amdhsa_fp16_overflow 0
		.amdhsa_exception_fp_ieee_invalid_op 0
		.amdhsa_exception_fp_denorm_src 0
		.amdhsa_exception_fp_ieee_div_zero 0
		.amdhsa_exception_fp_ieee_overflow 0
		.amdhsa_exception_fp_ieee_underflow 0
		.amdhsa_exception_fp_ieee_inexact 0
		.amdhsa_exception_int_div_zero 0
	.end_amdhsa_kernel
	.section	.text._ZN9rocsparseL18bsrsv_lower_sharedILj128ELj64ELi32ELb1E21rocsparse_complex_numIdEEEviNS_24const_host_device_scalarIT3_EEPKiS7_PKS4_iS9_PS4_PiSB_SB_21rocsparse_index_base_20rocsparse_diag_type_20rocsparse_direction_b,"axG",@progbits,_ZN9rocsparseL18bsrsv_lower_sharedILj128ELj64ELi32ELb1E21rocsparse_complex_numIdEEEviNS_24const_host_device_scalarIT3_EEPKiS7_PKS4_iS9_PS4_PiSB_SB_21rocsparse_index_base_20rocsparse_diag_type_20rocsparse_direction_b,comdat
.Lfunc_end80:
	.size	_ZN9rocsparseL18bsrsv_lower_sharedILj128ELj64ELi32ELb1E21rocsparse_complex_numIdEEEviNS_24const_host_device_scalarIT3_EEPKiS7_PKS4_iS9_PS4_PiSB_SB_21rocsparse_index_base_20rocsparse_diag_type_20rocsparse_direction_b, .Lfunc_end80-_ZN9rocsparseL18bsrsv_lower_sharedILj128ELj64ELi32ELb1E21rocsparse_complex_numIdEEEviNS_24const_host_device_scalarIT3_EEPKiS7_PKS4_iS9_PS4_PiSB_SB_21rocsparse_index_base_20rocsparse_diag_type_20rocsparse_direction_b
                                        ; -- End function
	.set _ZN9rocsparseL18bsrsv_lower_sharedILj128ELj64ELi32ELb1E21rocsparse_complex_numIdEEEviNS_24const_host_device_scalarIT3_EEPKiS7_PKS4_iS9_PS4_PiSB_SB_21rocsparse_index_base_20rocsparse_diag_type_20rocsparse_direction_b.num_vgpr, 37
	.set _ZN9rocsparseL18bsrsv_lower_sharedILj128ELj64ELi32ELb1E21rocsparse_complex_numIdEEEviNS_24const_host_device_scalarIT3_EEPKiS7_PKS4_iS9_PS4_PiSB_SB_21rocsparse_index_base_20rocsparse_diag_type_20rocsparse_direction_b.num_agpr, 0
	.set _ZN9rocsparseL18bsrsv_lower_sharedILj128ELj64ELi32ELb1E21rocsparse_complex_numIdEEEviNS_24const_host_device_scalarIT3_EEPKiS7_PKS4_iS9_PS4_PiSB_SB_21rocsparse_index_base_20rocsparse_diag_type_20rocsparse_direction_b.numbered_sgpr, 39
	.set _ZN9rocsparseL18bsrsv_lower_sharedILj128ELj64ELi32ELb1E21rocsparse_complex_numIdEEEviNS_24const_host_device_scalarIT3_EEPKiS7_PKS4_iS9_PS4_PiSB_SB_21rocsparse_index_base_20rocsparse_diag_type_20rocsparse_direction_b.num_named_barrier, 0
	.set _ZN9rocsparseL18bsrsv_lower_sharedILj128ELj64ELi32ELb1E21rocsparse_complex_numIdEEEviNS_24const_host_device_scalarIT3_EEPKiS7_PKS4_iS9_PS4_PiSB_SB_21rocsparse_index_base_20rocsparse_diag_type_20rocsparse_direction_b.private_seg_size, 16
	.set _ZN9rocsparseL18bsrsv_lower_sharedILj128ELj64ELi32ELb1E21rocsparse_complex_numIdEEEviNS_24const_host_device_scalarIT3_EEPKiS7_PKS4_iS9_PS4_PiSB_SB_21rocsparse_index_base_20rocsparse_diag_type_20rocsparse_direction_b.uses_vcc, 1
	.set _ZN9rocsparseL18bsrsv_lower_sharedILj128ELj64ELi32ELb1E21rocsparse_complex_numIdEEEviNS_24const_host_device_scalarIT3_EEPKiS7_PKS4_iS9_PS4_PiSB_SB_21rocsparse_index_base_20rocsparse_diag_type_20rocsparse_direction_b.uses_flat_scratch, 1
	.set _ZN9rocsparseL18bsrsv_lower_sharedILj128ELj64ELi32ELb1E21rocsparse_complex_numIdEEEviNS_24const_host_device_scalarIT3_EEPKiS7_PKS4_iS9_PS4_PiSB_SB_21rocsparse_index_base_20rocsparse_diag_type_20rocsparse_direction_b.has_dyn_sized_stack, 0
	.set _ZN9rocsparseL18bsrsv_lower_sharedILj128ELj64ELi32ELb1E21rocsparse_complex_numIdEEEviNS_24const_host_device_scalarIT3_EEPKiS7_PKS4_iS9_PS4_PiSB_SB_21rocsparse_index_base_20rocsparse_diag_type_20rocsparse_direction_b.has_recursion, 0
	.set _ZN9rocsparseL18bsrsv_lower_sharedILj128ELj64ELi32ELb1E21rocsparse_complex_numIdEEEviNS_24const_host_device_scalarIT3_EEPKiS7_PKS4_iS9_PS4_PiSB_SB_21rocsparse_index_base_20rocsparse_diag_type_20rocsparse_direction_b.has_indirect_call, 0
	.section	.AMDGPU.csdata,"",@progbits
; Kernel info:
; codeLenInByte = 3536
; TotalNumSgprs: 45
; NumVgprs: 37
; ScratchSize: 16
; MemoryBound: 1
; FloatMode: 240
; IeeeMode: 1
; LDSByteSize: 33792 bytes/workgroup (compile time only)
; SGPRBlocks: 12
; VGPRBlocks: 32
; NumSGPRsForWavesPerEU: 102
; NumVGPRsForWavesPerEU: 129
; Occupancy: 1
; WaveLimiterHint : 1
; COMPUTE_PGM_RSRC2:SCRATCH_EN: 1
; COMPUTE_PGM_RSRC2:USER_SGPR: 8
; COMPUTE_PGM_RSRC2:TRAP_HANDLER: 0
; COMPUTE_PGM_RSRC2:TGID_X_EN: 1
; COMPUTE_PGM_RSRC2:TGID_Y_EN: 0
; COMPUTE_PGM_RSRC2:TGID_Z_EN: 0
; COMPUTE_PGM_RSRC2:TIDIG_COMP_CNT: 0
	.section	.text._ZN9rocsparseL18bsrsv_lower_sharedILj128ELj64ELi32ELb0E21rocsparse_complex_numIdEEEviNS_24const_host_device_scalarIT3_EEPKiS7_PKS4_iS9_PS4_PiSB_SB_21rocsparse_index_base_20rocsparse_diag_type_20rocsparse_direction_b,"axG",@progbits,_ZN9rocsparseL18bsrsv_lower_sharedILj128ELj64ELi32ELb0E21rocsparse_complex_numIdEEEviNS_24const_host_device_scalarIT3_EEPKiS7_PKS4_iS9_PS4_PiSB_SB_21rocsparse_index_base_20rocsparse_diag_type_20rocsparse_direction_b,comdat
	.globl	_ZN9rocsparseL18bsrsv_lower_sharedILj128ELj64ELi32ELb0E21rocsparse_complex_numIdEEEviNS_24const_host_device_scalarIT3_EEPKiS7_PKS4_iS9_PS4_PiSB_SB_21rocsparse_index_base_20rocsparse_diag_type_20rocsparse_direction_b ; -- Begin function _ZN9rocsparseL18bsrsv_lower_sharedILj128ELj64ELi32ELb0E21rocsparse_complex_numIdEEEviNS_24const_host_device_scalarIT3_EEPKiS7_PKS4_iS9_PS4_PiSB_SB_21rocsparse_index_base_20rocsparse_diag_type_20rocsparse_direction_b
	.p2align	8
	.type	_ZN9rocsparseL18bsrsv_lower_sharedILj128ELj64ELi32ELb0E21rocsparse_complex_numIdEEEviNS_24const_host_device_scalarIT3_EEPKiS7_PKS4_iS9_PS4_PiSB_SB_21rocsparse_index_base_20rocsparse_diag_type_20rocsparse_direction_b,@function
_ZN9rocsparseL18bsrsv_lower_sharedILj128ELj64ELi32ELb0E21rocsparse_complex_numIdEEEviNS_24const_host_device_scalarIT3_EEPKiS7_PKS4_iS9_PS4_PiSB_SB_21rocsparse_index_base_20rocsparse_diag_type_20rocsparse_direction_b: ; @_ZN9rocsparseL18bsrsv_lower_sharedILj128ELj64ELi32ELb0E21rocsparse_complex_numIdEEEviNS_24const_host_device_scalarIT3_EEPKiS7_PKS4_iS9_PS4_PiSB_SB_21rocsparse_index_base_20rocsparse_diag_type_20rocsparse_direction_b
; %bb.0:
	s_add_u32 flat_scratch_lo, s6, s9
	s_load_dwordx4 s[12:15], s[4:5], 0x60
	s_load_dwordx4 s[16:19], s[4:5], 0x8
	s_addc_u32 flat_scratch_hi, s7, 0
	s_add_u32 s0, s0, s9
	s_addc_u32 s1, s1, 0
	s_waitcnt lgkmcnt(0)
	s_bitcmp1_b32 s15, 0
	s_cselect_b64 s[10:11], -1, 0
	s_mov_b64 s[6:7], src_private_base
	v_mov_b32_e32 v1, s17
	s_and_b64 vcc, s[10:11], exec
	buffer_store_dword v1, off, s[0:3], 0 offset:4
	v_mov_b32_e32 v1, s16
	s_cselect_b32 s6, s7, s17
	s_cselect_b32 s7, 0, s16
	buffer_store_dword v1, off, s[0:3], 0
	v_mov_b32_e32 v1, s7
	v_mov_b32_e32 v2, s6
	flat_load_dwordx2 v[1:2], v[1:2]
	v_mov_b32_e32 v7, s18
	v_mov_b32_e32 v8, s19
	s_cbranch_vccnz .LBB81_2
; %bb.1:
	v_mov_b32_e32 v3, s16
	v_mov_b32_e32 v4, s17
	flat_load_dwordx2 v[7:8], v[3:4] offset:8
.LBB81_2:
	s_load_dword s9, s[4:5], 0x0
	s_lshl_b32 s6, s8, 1
	v_lshrrev_b32_e32 v13, 6, v0
	s_and_b32 s6, s6, 0x3fffffe
	v_or_b32_e32 v3, s6, v13
	s_waitcnt lgkmcnt(0)
	v_cmp_gt_i32_e32 vcc, s9, v3
	s_and_saveexec_b64 s[6:7], vcc
	s_cbranch_execz .LBB81_31
; %bb.3:
	s_load_dwordx2 s[6:7], s[4:5], 0x50
	s_load_dwordx4 s[16:19], s[4:5], 0x40
	v_lshlrev_b32_e32 v3, 2, v3
	v_and_b32_e32 v12, 63, v0
	v_mov_b32_e32 v5, 0
	s_waitcnt lgkmcnt(0)
	global_load_dword v9, v3, s[6:7]
	s_load_dwordx2 s[6:7], s[4:5], 0x18
	s_load_dword s33, s[4:5], 0x30
	v_mov_b32_e32 v6, 0
	s_waitcnt lgkmcnt(0)
	v_mov_b32_e32 v4, s7
	v_cmp_gt_i32_e64 s[10:11], s33, v12
	s_waitcnt vmcnt(0)
	v_ashrrev_i32_e32 v10, 31, v9
	v_lshlrev_b64 v[10:11], 2, v[9:10]
	v_add_co_u32_e32 v3, vcc, s6, v10
	v_addc_co_u32_e32 v4, vcc, v4, v11, vcc
	global_load_dwordx2 v[15:16], v[3:4], off
	v_mov_b32_e32 v3, 0
	v_mov_b32_e32 v4, 0
	s_and_saveexec_b64 s[6:7], s[10:11]
	s_cbranch_execz .LBB81_5
; %bb.4:
	v_mad_u64_u32 v[3:4], s[20:21], v9, s33, v[12:13]
	s_load_dwordx2 s[20:21], s[4:5], 0x38
	v_ashrrev_i32_e32 v4, 31, v3
	v_lshlrev_b64 v[3:4], 4, v[3:4]
	s_waitcnt lgkmcnt(0)
	v_mov_b32_e32 v5, s21
	v_add_co_u32_e32 v3, vcc, s20, v3
	v_addc_co_u32_e32 v4, vcc, v5, v4, vcc
	global_load_dwordx4 v[3:6], v[3:4], off
.LBB81_5:
	s_or_b64 exec, exec, s[6:7]
	s_waitcnt vmcnt(0)
	v_mul_f64 v[17:18], v[5:6], -v[7:8]
	v_mul_f64 v[5:6], v[1:2], v[5:6]
	s_load_dwordx2 s[24:25], s[4:5], 0x58
	v_cmp_lt_i32_e32 vcc, v15, v16
	v_mov_b32_e32 v14, s9
	v_fma_f64 v[1:2], v[1:2], v[3:4], v[17:18]
	v_fma_f64 v[3:4], v[7:8], v[3:4], v[5:6]
	v_lshlrev_b32_e32 v17, 14, v13
	s_and_saveexec_b64 s[26:27], vcc
	s_cbranch_execz .LBB81_28
; %bb.6:
	v_mov_b32_e32 v5, 0x8000
	v_lshl_or_b32 v18, v13, 9, v5
	v_subrev_u32_e32 v13, s12, v15
	v_and_b32_e32 v0, 31, v0
	s_load_dwordx4 s[20:23], s[4:5], 0x20
	v_mad_u64_u32 v[5:6], s[4:5], s33, v13, v[0:1]
	v_lshrrev_b32_e32 v19, 5, v12
	v_lshlrev_b32_e32 v6, 4, v12
	v_mul_lo_u32 v22, s33, v5
	s_cmp_lg_u32 s14, 0
	v_add_u32_e32 v20, v18, v6
	v_add_u32_e32 v21, v17, v6
	v_lshlrev_b32_e32 v5, 9, v19
	v_lshlrev_b32_e32 v6, 4, v0
	v_subrev_u32_e32 v16, s12, v16
	v_cmp_gt_i32_e64 s[6:7], s33, v0
	s_cselect_b64 s[14:15], -1, 0
	v_cmp_gt_u32_e64 s[8:9], 32, v12
	s_mul_i32 s38, s33, s33
	v_add3_u32 v23, v17, v5, v6
	s_mov_b64 s[28:29], 0
	s_waitcnt lgkmcnt(0)
	v_mov_b32_e32 v24, s21
	s_branch .LBB81_9
.LBB81_7:                               ;   in Loop: Header=BB81_9 Depth=1
	s_or_b64 exec, exec, s[4:5]
.LBB81_8:                               ;   in Loop: Header=BB81_9 Depth=1
	s_or_b64 exec, exec, s[30:31]
	v_add_u32_e32 v13, 1, v13
	v_cmp_ge_i32_e64 s[4:5], v13, v16
	s_xor_b64 s[30:31], vcc, -1
	s_or_b64 s[4:5], s[30:31], s[4:5]
	s_and_b64 s[4:5], exec, s[4:5]
	s_or_b64 s[28:29], s[4:5], s[28:29]
	v_add_u32_e32 v22, s38, v22
	s_andn2_b64 exec, exec, s[28:29]
	s_cbranch_execz .LBB81_27
.LBB81_9:                               ; =>This Loop Header: Depth=1
                                        ;     Child Loop BB81_12 Depth 2
                                        ;     Child Loop BB81_20 Depth 2
	v_ashrrev_i32_e32 v14, 31, v13
	v_lshlrev_b64 v[5:6], 2, v[13:14]
	v_mul_lo_u32 v15, v13, s33
	v_add_co_u32_e32 v5, vcc, s20, v5
	v_addc_co_u32_e32 v6, vcc, v24, v6, vcc
	global_load_dword v14, v[5:6], off
	s_mov_b64 s[4:5], 0
	v_mov_b32_e32 v25, v23
	v_mov_b32_e32 v26, v19
	s_branch .LBB81_12
.LBB81_10:                              ;   in Loop: Header=BB81_12 Depth=2
	v_ashrrev_i32_e32 v6, 31, v5
	v_lshlrev_b64 v[5:6], 4, v[5:6]
	v_mov_b32_e32 v7, s23
	v_add_co_u32_e32 v5, vcc, s22, v5
	v_addc_co_u32_e32 v6, vcc, v7, v6, vcc
	global_load_dwordx4 v[5:8], v[5:6], off
.LBB81_11:                              ;   in Loop: Header=BB81_12 Depth=2
	s_or_b64 exec, exec, s[30:31]
	s_waitcnt vmcnt(0)
	ds_write_b128 v25, v[5:8]
	v_add_u32_e32 v5, 2, v26
	v_cmp_lt_u32_e32 vcc, 29, v26
	v_add_u32_e32 v25, 0x400, v25
	s_or_b64 s[4:5], vcc, s[4:5]
	v_mov_b32_e32 v26, v5
	s_andn2_b64 exec, exec, s[4:5]
	s_cbranch_execz .LBB81_17
.LBB81_12:                              ;   Parent Loop BB81_9 Depth=1
                                        ; =>  This Inner Loop Header: Depth=2
	v_cmp_gt_i32_e32 vcc, s33, v26
	v_mov_b32_e32 v5, 0
	v_mov_b32_e32 v7, 0
	;; [unrolled: 1-line block ×4, first 2 shown]
	s_and_b64 s[34:35], s[6:7], vcc
	s_and_saveexec_b64 s[30:31], s[34:35]
	s_cbranch_execz .LBB81_11
; %bb.13:                               ;   in Loop: Header=BB81_12 Depth=2
	s_and_b64 vcc, exec, s[14:15]
	s_cbranch_vccz .LBB81_15
; %bb.14:                               ;   in Loop: Header=BB81_12 Depth=2
	v_add_u32_e32 v5, v26, v15
	v_mad_u64_u32 v[5:6], s[34:35], v5, s33, v[0:1]
	s_cbranch_execnz .LBB81_10
	s_branch .LBB81_16
.LBB81_15:                              ;   in Loop: Header=BB81_12 Depth=2
                                        ; implicit-def: $vgpr5
.LBB81_16:                              ;   in Loop: Header=BB81_12 Depth=2
	v_add_u32_e32 v5, v22, v26
	s_branch .LBB81_10
.LBB81_17:                              ;   in Loop: Header=BB81_9 Depth=1
	s_or_b64 exec, exec, s[4:5]
	v_subrev_u32_e32 v14, s12, v14
	v_cmp_lt_i32_e32 vcc, v14, v9
	s_and_saveexec_b64 s[30:31], vcc
	s_cbranch_execz .LBB81_8
; %bb.18:                               ;   in Loop: Header=BB81_9 Depth=1
	v_ashrrev_i32_e32 v15, 31, v14
	v_lshlrev_b64 v[5:6], 2, v[14:15]
	v_mov_b32_e32 v7, s19
	v_add_co_u32_e64 v5, s[4:5], s18, v5
	v_addc_co_u32_e64 v6, s[4:5], v7, v6, s[4:5]
	global_load_dword v7, v[5:6], off glc
	s_waitcnt vmcnt(0)
	v_cmp_eq_u32_e64 s[4:5], 0, v7
	s_and_saveexec_b64 s[34:35], s[4:5]
	s_cbranch_execz .LBB81_21
; %bb.19:                               ;   in Loop: Header=BB81_9 Depth=1
	s_mov_b64 s[36:37], 0
.LBB81_20:                              ;   Parent Loop BB81_9 Depth=1
                                        ; =>  This Inner Loop Header: Depth=2
	global_load_dword v7, v[5:6], off glc
	s_waitcnt vmcnt(0)
	v_cmp_ne_u32_e64 s[4:5], 0, v7
	s_or_b64 s[36:37], s[4:5], s[36:37]
	s_andn2_b64 exec, exec, s[36:37]
	s_cbranch_execnz .LBB81_20
.LBB81_21:                              ;   in Loop: Header=BB81_9 Depth=1
	s_or_b64 exec, exec, s[34:35]
	s_waitcnt lgkmcnt(0)
	buffer_wbinvl1_vol
	s_and_saveexec_b64 s[34:35], s[8:9]
	s_cbranch_execz .LBB81_25
; %bb.22:                               ;   in Loop: Header=BB81_9 Depth=1
	v_mov_b32_e32 v7, 0
	v_mov_b32_e32 v5, 0
	;; [unrolled: 1-line block ×4, first 2 shown]
	s_and_saveexec_b64 s[36:37], s[10:11]
	s_cbranch_execz .LBB81_24
; %bb.23:                               ;   in Loop: Header=BB81_9 Depth=1
	v_mad_u64_u32 v[5:6], s[4:5], v14, s33, v[12:13]
	v_mov_b32_e32 v7, s17
	v_ashrrev_i32_e32 v6, 31, v5
	v_lshlrev_b64 v[5:6], 4, v[5:6]
	v_add_co_u32_e64 v5, s[4:5], s16, v5
	v_addc_co_u32_e64 v6, s[4:5], v7, v6, s[4:5]
	global_load_dwordx4 v[5:8], v[5:6], off
.LBB81_24:                              ;   in Loop: Header=BB81_9 Depth=1
	s_or_b64 exec, exec, s[36:37]
	s_waitcnt vmcnt(0)
	ds_write_b128 v20, v[5:8]
.LBB81_25:                              ;   in Loop: Header=BB81_9 Depth=1
	s_or_b64 exec, exec, s[34:35]
	s_waitcnt lgkmcnt(0)
	s_and_saveexec_b64 s[4:5], s[10:11]
	s_cbranch_execz .LBB81_7
; %bb.26:                               ;   in Loop: Header=BB81_9 Depth=1
	ds_read_b128 v[5:8], v21
	ds_read_b128 v[25:28], v18
	ds_read_b128 v[29:32], v18 offset:16
	ds_read_b128 v[33:36], v21 offset:512
	s_waitcnt lgkmcnt(2)
	v_fma_f64 v[1:2], -v[5:6], v[25:26], v[1:2]
	v_fma_f64 v[3:4], -v[7:8], v[25:26], v[3:4]
	v_fma_f64 v[1:2], v[7:8], v[27:28], v[1:2]
	v_fma_f64 v[3:4], -v[5:6], v[27:28], v[3:4]
	s_waitcnt lgkmcnt(0)
	v_fma_f64 v[1:2], -v[33:34], v[29:30], v[1:2]
	v_fma_f64 v[3:4], -v[35:36], v[29:30], v[3:4]
	v_fma_f64 v[35:36], v[35:36], v[31:32], v[1:2]
	v_fma_f64 v[33:34], -v[33:34], v[31:32], v[3:4]
	ds_read_b128 v[1:4], v21 offset:1024
	ds_read_b128 v[5:8], v18 offset:32
	ds_read_b128 v[25:28], v18 offset:48
	ds_read_b128 v[29:32], v21 offset:1536
	s_waitcnt lgkmcnt(2)
	v_fma_f64 v[35:36], -v[1:2], v[5:6], v[35:36]
	v_fma_f64 v[5:6], -v[3:4], v[5:6], v[33:34]
	v_fma_f64 v[3:4], v[3:4], v[7:8], v[35:36]
	v_fma_f64 v[1:2], -v[1:2], v[7:8], v[5:6]
	s_waitcnt lgkmcnt(0)
	v_fma_f64 v[3:4], -v[29:30], v[25:26], v[3:4]
	v_fma_f64 v[1:2], -v[31:32], v[25:26], v[1:2]
	v_fma_f64 v[33:34], v[31:32], v[27:28], v[3:4]
	v_fma_f64 v[35:36], -v[29:30], v[27:28], v[1:2]
	ds_read_b128 v[1:4], v18 offset:64
	ds_read_b128 v[5:8], v21 offset:2048
	ds_read_b128 v[25:28], v21 offset:2560
	ds_read_b128 v[29:32], v18 offset:80
	s_waitcnt lgkmcnt(2)
	v_fma_f64 v[33:34], -v[5:6], v[1:2], v[33:34]
	v_fma_f64 v[1:2], -v[7:8], v[1:2], v[35:36]
	v_fma_f64 v[7:8], v[7:8], v[3:4], v[33:34]
	v_fma_f64 v[1:2], -v[5:6], v[3:4], v[1:2]
	s_waitcnt lgkmcnt(0)
	v_fma_f64 v[3:4], -v[25:26], v[29:30], v[7:8]
	v_fma_f64 v[1:2], -v[27:28], v[29:30], v[1:2]
	v_fma_f64 v[33:34], v[27:28], v[31:32], v[3:4]
	v_fma_f64 v[35:36], -v[25:26], v[31:32], v[1:2]
	ds_read_b128 v[1:4], v18 offset:96
	ds_read_b128 v[5:8], v21 offset:3072
	ds_read_b128 v[25:28], v21 offset:3584
	ds_read_b128 v[29:32], v18 offset:112
	s_waitcnt lgkmcnt(2)
	v_fma_f64 v[33:34], -v[5:6], v[1:2], v[33:34]
	v_fma_f64 v[1:2], -v[7:8], v[1:2], v[35:36]
	v_fma_f64 v[7:8], v[7:8], v[3:4], v[33:34]
	v_fma_f64 v[1:2], -v[5:6], v[3:4], v[1:2]
	s_waitcnt lgkmcnt(0)
	v_fma_f64 v[3:4], -v[25:26], v[29:30], v[7:8]
	v_fma_f64 v[1:2], -v[27:28], v[29:30], v[1:2]
	v_fma_f64 v[33:34], v[27:28], v[31:32], v[3:4]
	v_fma_f64 v[35:36], -v[25:26], v[31:32], v[1:2]
	ds_read_b128 v[1:4], v18 offset:128
	ds_read_b128 v[5:8], v21 offset:4096
	ds_read_b128 v[25:28], v21 offset:4608
	ds_read_b128 v[29:32], v18 offset:144
	s_waitcnt lgkmcnt(2)
	v_fma_f64 v[33:34], -v[5:6], v[1:2], v[33:34]
	v_fma_f64 v[1:2], -v[7:8], v[1:2], v[35:36]
	v_fma_f64 v[7:8], v[7:8], v[3:4], v[33:34]
	v_fma_f64 v[1:2], -v[5:6], v[3:4], v[1:2]
	s_waitcnt lgkmcnt(0)
	v_fma_f64 v[3:4], -v[25:26], v[29:30], v[7:8]
	v_fma_f64 v[1:2], -v[27:28], v[29:30], v[1:2]
	v_fma_f64 v[33:34], v[27:28], v[31:32], v[3:4]
	v_fma_f64 v[35:36], -v[25:26], v[31:32], v[1:2]
	ds_read_b128 v[1:4], v18 offset:160
	ds_read_b128 v[5:8], v21 offset:5120
	ds_read_b128 v[25:28], v21 offset:5632
	ds_read_b128 v[29:32], v18 offset:176
	s_waitcnt lgkmcnt(2)
	v_fma_f64 v[33:34], -v[5:6], v[1:2], v[33:34]
	v_fma_f64 v[1:2], -v[7:8], v[1:2], v[35:36]
	v_fma_f64 v[7:8], v[7:8], v[3:4], v[33:34]
	v_fma_f64 v[1:2], -v[5:6], v[3:4], v[1:2]
	s_waitcnt lgkmcnt(0)
	v_fma_f64 v[3:4], -v[25:26], v[29:30], v[7:8]
	v_fma_f64 v[1:2], -v[27:28], v[29:30], v[1:2]
	v_fma_f64 v[33:34], v[27:28], v[31:32], v[3:4]
	v_fma_f64 v[35:36], -v[25:26], v[31:32], v[1:2]
	ds_read_b128 v[1:4], v18 offset:192
	ds_read_b128 v[5:8], v21 offset:6144
	ds_read_b128 v[25:28], v21 offset:6656
	ds_read_b128 v[29:32], v18 offset:208
	s_waitcnt lgkmcnt(2)
	v_fma_f64 v[33:34], -v[5:6], v[1:2], v[33:34]
	v_fma_f64 v[1:2], -v[7:8], v[1:2], v[35:36]
	v_fma_f64 v[7:8], v[7:8], v[3:4], v[33:34]
	v_fma_f64 v[1:2], -v[5:6], v[3:4], v[1:2]
	s_waitcnt lgkmcnt(0)
	v_fma_f64 v[3:4], -v[25:26], v[29:30], v[7:8]
	v_fma_f64 v[1:2], -v[27:28], v[29:30], v[1:2]
	v_fma_f64 v[33:34], v[27:28], v[31:32], v[3:4]
	v_fma_f64 v[35:36], -v[25:26], v[31:32], v[1:2]
	ds_read_b128 v[1:4], v18 offset:224
	ds_read_b128 v[5:8], v21 offset:7168
	ds_read_b128 v[25:28], v21 offset:7680
	ds_read_b128 v[29:32], v18 offset:240
	s_waitcnt lgkmcnt(2)
	v_fma_f64 v[33:34], -v[5:6], v[1:2], v[33:34]
	v_fma_f64 v[1:2], -v[7:8], v[1:2], v[35:36]
	v_fma_f64 v[7:8], v[7:8], v[3:4], v[33:34]
	v_fma_f64 v[1:2], -v[5:6], v[3:4], v[1:2]
	s_waitcnt lgkmcnt(0)
	v_fma_f64 v[3:4], -v[25:26], v[29:30], v[7:8]
	v_fma_f64 v[1:2], -v[27:28], v[29:30], v[1:2]
	v_fma_f64 v[33:34], v[27:28], v[31:32], v[3:4]
	v_fma_f64 v[35:36], -v[25:26], v[31:32], v[1:2]
	ds_read_b128 v[1:4], v18 offset:256
	ds_read_b128 v[5:8], v21 offset:8192
	ds_read_b128 v[25:28], v21 offset:8704
	ds_read_b128 v[29:32], v18 offset:272
	s_waitcnt lgkmcnt(2)
	v_fma_f64 v[33:34], -v[5:6], v[1:2], v[33:34]
	v_fma_f64 v[1:2], -v[7:8], v[1:2], v[35:36]
	v_fma_f64 v[7:8], v[7:8], v[3:4], v[33:34]
	v_fma_f64 v[1:2], -v[5:6], v[3:4], v[1:2]
	s_waitcnt lgkmcnt(0)
	v_fma_f64 v[3:4], -v[25:26], v[29:30], v[7:8]
	v_fma_f64 v[1:2], -v[27:28], v[29:30], v[1:2]
	v_fma_f64 v[33:34], v[27:28], v[31:32], v[3:4]
	v_fma_f64 v[35:36], -v[25:26], v[31:32], v[1:2]
	ds_read_b128 v[1:4], v18 offset:288
	ds_read_b128 v[5:8], v21 offset:9216
	ds_read_b128 v[25:28], v21 offset:9728
	ds_read_b128 v[29:32], v18 offset:304
	s_waitcnt lgkmcnt(2)
	v_fma_f64 v[33:34], -v[5:6], v[1:2], v[33:34]
	v_fma_f64 v[1:2], -v[7:8], v[1:2], v[35:36]
	v_fma_f64 v[7:8], v[7:8], v[3:4], v[33:34]
	v_fma_f64 v[1:2], -v[5:6], v[3:4], v[1:2]
	s_waitcnt lgkmcnt(0)
	v_fma_f64 v[3:4], -v[25:26], v[29:30], v[7:8]
	v_fma_f64 v[1:2], -v[27:28], v[29:30], v[1:2]
	v_fma_f64 v[33:34], v[27:28], v[31:32], v[3:4]
	v_fma_f64 v[35:36], -v[25:26], v[31:32], v[1:2]
	ds_read_b128 v[1:4], v18 offset:320
	ds_read_b128 v[5:8], v21 offset:10240
	ds_read_b128 v[25:28], v21 offset:10752
	ds_read_b128 v[29:32], v18 offset:336
	s_waitcnt lgkmcnt(2)
	v_fma_f64 v[33:34], -v[5:6], v[1:2], v[33:34]
	v_fma_f64 v[1:2], -v[7:8], v[1:2], v[35:36]
	v_fma_f64 v[7:8], v[7:8], v[3:4], v[33:34]
	v_fma_f64 v[1:2], -v[5:6], v[3:4], v[1:2]
	s_waitcnt lgkmcnt(0)
	v_fma_f64 v[3:4], -v[25:26], v[29:30], v[7:8]
	v_fma_f64 v[1:2], -v[27:28], v[29:30], v[1:2]
	v_fma_f64 v[33:34], v[27:28], v[31:32], v[3:4]
	v_fma_f64 v[35:36], -v[25:26], v[31:32], v[1:2]
	ds_read_b128 v[1:4], v18 offset:352
	ds_read_b128 v[5:8], v21 offset:11264
	ds_read_b128 v[25:28], v21 offset:11776
	ds_read_b128 v[29:32], v18 offset:368
	s_waitcnt lgkmcnt(2)
	v_fma_f64 v[33:34], -v[5:6], v[1:2], v[33:34]
	v_fma_f64 v[1:2], -v[7:8], v[1:2], v[35:36]
	v_fma_f64 v[7:8], v[7:8], v[3:4], v[33:34]
	v_fma_f64 v[1:2], -v[5:6], v[3:4], v[1:2]
	s_waitcnt lgkmcnt(0)
	v_fma_f64 v[3:4], -v[25:26], v[29:30], v[7:8]
	v_fma_f64 v[1:2], -v[27:28], v[29:30], v[1:2]
	v_fma_f64 v[33:34], v[27:28], v[31:32], v[3:4]
	v_fma_f64 v[35:36], -v[25:26], v[31:32], v[1:2]
	ds_read_b128 v[1:4], v18 offset:384
	ds_read_b128 v[5:8], v21 offset:12288
	ds_read_b128 v[25:28], v21 offset:12800
	ds_read_b128 v[29:32], v18 offset:400
	s_waitcnt lgkmcnt(2)
	v_fma_f64 v[33:34], -v[5:6], v[1:2], v[33:34]
	v_fma_f64 v[1:2], -v[7:8], v[1:2], v[35:36]
	v_fma_f64 v[7:8], v[7:8], v[3:4], v[33:34]
	v_fma_f64 v[1:2], -v[5:6], v[3:4], v[1:2]
	s_waitcnt lgkmcnt(0)
	v_fma_f64 v[3:4], -v[25:26], v[29:30], v[7:8]
	v_fma_f64 v[1:2], -v[27:28], v[29:30], v[1:2]
	v_fma_f64 v[33:34], v[27:28], v[31:32], v[3:4]
	v_fma_f64 v[35:36], -v[25:26], v[31:32], v[1:2]
	ds_read_b128 v[1:4], v18 offset:416
	ds_read_b128 v[5:8], v21 offset:13312
	ds_read_b128 v[25:28], v21 offset:13824
	ds_read_b128 v[29:32], v18 offset:432
	s_waitcnt lgkmcnt(2)
	v_fma_f64 v[33:34], -v[5:6], v[1:2], v[33:34]
	v_fma_f64 v[1:2], -v[7:8], v[1:2], v[35:36]
	v_fma_f64 v[7:8], v[7:8], v[3:4], v[33:34]
	v_fma_f64 v[1:2], -v[5:6], v[3:4], v[1:2]
	s_waitcnt lgkmcnt(0)
	v_fma_f64 v[3:4], -v[25:26], v[29:30], v[7:8]
	v_fma_f64 v[1:2], -v[27:28], v[29:30], v[1:2]
	v_fma_f64 v[33:34], v[27:28], v[31:32], v[3:4]
	v_fma_f64 v[35:36], -v[25:26], v[31:32], v[1:2]
	ds_read_b128 v[1:4], v18 offset:448
	ds_read_b128 v[5:8], v21 offset:14336
	ds_read_b128 v[25:28], v21 offset:14848
	ds_read_b128 v[29:32], v18 offset:464
	s_waitcnt lgkmcnt(2)
	v_fma_f64 v[33:34], -v[5:6], v[1:2], v[33:34]
	v_fma_f64 v[1:2], -v[7:8], v[1:2], v[35:36]
	v_fma_f64 v[7:8], v[7:8], v[3:4], v[33:34]
	v_fma_f64 v[1:2], -v[5:6], v[3:4], v[1:2]
	s_waitcnt lgkmcnt(0)
	v_fma_f64 v[3:4], -v[25:26], v[29:30], v[7:8]
	v_fma_f64 v[1:2], -v[27:28], v[29:30], v[1:2]
	v_fma_f64 v[33:34], v[27:28], v[31:32], v[3:4]
	v_fma_f64 v[35:36], -v[25:26], v[31:32], v[1:2]
	ds_read_b128 v[1:4], v18 offset:480
	ds_read_b128 v[5:8], v21 offset:15360
	ds_read_b128 v[25:28], v21 offset:15872
	ds_read_b128 v[29:32], v18 offset:496
	s_waitcnt lgkmcnt(2)
	v_fma_f64 v[33:34], -v[5:6], v[1:2], v[33:34]
	v_fma_f64 v[1:2], -v[7:8], v[1:2], v[35:36]
	v_fma_f64 v[7:8], v[7:8], v[3:4], v[33:34]
	v_fma_f64 v[1:2], -v[5:6], v[3:4], v[1:2]
	s_waitcnt lgkmcnt(0)
	v_fma_f64 v[3:4], -v[25:26], v[29:30], v[7:8]
	v_fma_f64 v[5:6], -v[27:28], v[29:30], v[1:2]
	v_fma_f64 v[1:2], v[27:28], v[31:32], v[3:4]
	v_fma_f64 v[3:4], -v[25:26], v[31:32], v[5:6]
	s_branch .LBB81_7
.LBB81_27:
	s_or_b64 exec, exec, s[28:29]
.LBB81_28:
	s_or_b64 exec, exec, s[26:27]
	s_cmp_gt_i32 s33, 0
	v_cmp_eq_u32_e32 vcc, v14, v9
	s_cselect_b64 s[4:5], -1, 0
	s_mov_b32 s22, 0
	s_and_b64 s[6:7], s[4:5], vcc
	s_mov_b64 s[4:5], 0
	s_and_saveexec_b64 s[8:9], s[6:7]
	s_cbranch_execnz .LBB81_32
; %bb.29:
	s_or_b64 exec, exec, s[8:9]
	s_and_saveexec_b64 s[6:7], s[10:11]
	s_cbranch_execnz .LBB81_46
.LBB81_30:
	s_or_b64 exec, exec, s[6:7]
	v_cmp_eq_u32_e32 vcc, 0, v12
	s_and_b64 exec, exec, vcc
	s_cbranch_execnz .LBB81_47
.LBB81_31:
	s_endpgm
.LBB81_32:
	s_cmp_eq_u32 s13, 0
	v_mbcnt_lo_u32_b32 v0, -1, 0
	s_cselect_b64 s[4:5], -1, 0
	v_mbcnt_hi_u32_b32 v0, -1, v0
	v_cndmask_b32_e64 v5, 0, 1, s[4:5]
	v_and_b32_e32 v0, 64, v0
	v_lshl_add_u32 v18, v12, 4, v17
	s_mov_b64 s[20:21], 0
	v_cmp_ne_u32_e64 s[6:7], 1, v5
                                        ; implicit-def: $sgpr14_sgpr15
	s_and_b64 vcc, exec, s[6:7]
	s_cbranch_vccz .LBB81_34
.LBB81_33:
	v_mov_b32_e32 v5, 0
	v_mov_b32_e32 v7, 0
	;; [unrolled: 1-line block ×4, first 2 shown]
	s_branch .LBB81_35
.LBB81_34:
	ds_read_b128 v[5:8], v17
.LBB81_35:
	s_waitcnt lgkmcnt(0)
	v_cmp_neq_f64_e32 vcc, 0, v[5:6]
	v_cmp_neq_f64_e64 s[4:5], 0, v[7:8]
	v_and_or_b32 v13, s22, 63, v0
	v_lshlrev_b32_e32 v14, 2, v13
	ds_bpermute_b32 v15, v14, v1
	ds_bpermute_b32 v16, v14, v2
	;; [unrolled: 1-line block ×4, first 2 shown]
	s_or_b64 s[14:15], s[14:15], exec
	s_or_b64 s[26:27], vcc, s[4:5]
	s_and_saveexec_b64 s[4:5], s[26:27]
	s_cbranch_execz .LBB81_37
; %bb.36:
	v_mul_f64 v[19:20], v[7:8], v[7:8]
	s_andn2_b64 s[14:15], s[14:15], exec
	s_and_b64 s[20:21], s[20:21], exec
	s_or_b64 s[14:15], s[14:15], s[20:21]
	v_fma_f64 v[19:20], v[5:6], v[5:6], v[19:20]
	v_div_scale_f64 v[21:22], s[26:27], v[19:20], v[19:20], 1.0
	v_rcp_f64_e32 v[23:24], v[21:22]
	v_fma_f64 v[25:26], -v[21:22], v[23:24], 1.0
	v_fma_f64 v[23:24], v[23:24], v[25:26], v[23:24]
	v_div_scale_f64 v[25:26], vcc, 1.0, v[19:20], 1.0
	v_fma_f64 v[27:28], -v[21:22], v[23:24], 1.0
	v_fma_f64 v[23:24], v[23:24], v[27:28], v[23:24]
	v_mul_f64 v[27:28], v[25:26], v[23:24]
	v_fma_f64 v[21:22], -v[21:22], v[27:28], v[25:26]
	v_div_fmas_f64 v[21:22], v[21:22], v[23:24], v[27:28]
	s_waitcnt lgkmcnt(0)
	v_mul_f64 v[23:24], v[7:8], v[13:14]
	v_mul_f64 v[7:8], v[7:8], -v[15:16]
	v_fma_f64 v[15:16], v[15:16], v[5:6], v[23:24]
	v_fma_f64 v[5:6], v[13:14], v[5:6], v[7:8]
	v_div_fixup_f64 v[19:20], v[21:22], v[19:20], 1.0
	v_mul_f64 v[15:16], v[19:20], v[15:16]
	v_mul_f64 v[13:14], v[19:20], v[5:6]
.LBB81_37:
	s_or_b64 exec, exec, s[4:5]
	s_and_saveexec_b64 s[4:5], s[10:11]
	s_cbranch_execz .LBB81_43
; %bb.38:
	v_cmp_ge_u32_e32 vcc, s22, v12
	s_and_saveexec_b64 s[20:21], vcc
	s_xor_b64 s[20:21], exec, s[20:21]
	s_cbranch_execz .LBB81_40
; %bb.39:
	v_cmp_eq_u32_e32 vcc, s22, v12
	s_waitcnt lgkmcnt(2)
	v_cndmask_b32_e32 v2, v2, v16, vcc
	v_cndmask_b32_e32 v1, v1, v15, vcc
	s_waitcnt lgkmcnt(0)
	v_cndmask_b32_e32 v4, v4, v14, vcc
	v_cndmask_b32_e32 v3, v3, v13, vcc
                                        ; implicit-def: $vgpr15_vgpr16
                                        ; implicit-def: $vgpr13_vgpr14
.LBB81_40:
	s_andn2_saveexec_b64 s[20:21], s[20:21]
	s_cbranch_execz .LBB81_42
; %bb.41:
	ds_read_b128 v[5:8], v18
	s_waitcnt lgkmcnt(0)
	v_fma_f64 v[1:2], -v[15:16], v[5:6], v[1:2]
	v_fma_f64 v[3:4], -v[13:14], v[5:6], v[3:4]
	v_fma_f64 v[1:2], v[13:14], v[7:8], v[1:2]
	v_fma_f64 v[3:4], -v[15:16], v[7:8], v[3:4]
.LBB81_42:
	s_or_b64 exec, exec, s[20:21]
.LBB81_43:
	s_or_b64 exec, exec, s[4:5]
	s_add_i32 s22, s22, 1
	v_add_u32_e32 v18, 0x200, v18
	s_cmp_lg_u32 s33, s22
	v_add_u32_e32 v17, 0x210, v17
	s_cbranch_scc0 .LBB81_45
; %bb.44:
	s_mov_b64 s[20:21], s[14:15]
	s_and_b64 vcc, exec, s[6:7]
	s_cbranch_vccnz .LBB81_33
	s_branch .LBB81_34
.LBB81_45:
	s_and_b64 s[4:5], s[14:15], exec
	s_or_b64 exec, exec, s[8:9]
	s_and_saveexec_b64 s[6:7], s[10:11]
	s_cbranch_execz .LBB81_30
.LBB81_46:
	s_waitcnt lgkmcnt(0)
	v_mad_u64_u32 v[5:6], s[8:9], v9, s33, v[12:13]
	v_mov_b32_e32 v0, s17
	v_ashrrev_i32_e32 v6, 31, v5
	v_lshlrev_b64 v[5:6], 4, v[5:6]
	v_add_co_u32_e32 v5, vcc, s16, v5
	v_addc_co_u32_e32 v6, vcc, v0, v6, vcc
	global_store_dwordx4 v[5:6], v[1:4], off
	s_or_b64 exec, exec, s[6:7]
	v_cmp_eq_u32_e32 vcc, 0, v12
	s_and_b64 exec, exec, vcc
	s_cbranch_execz .LBB81_31
.LBB81_47:
	v_mov_b32_e32 v1, s19
	v_add_co_u32_e32 v0, vcc, s18, v10
	v_addc_co_u32_e32 v1, vcc, v1, v11, vcc
	v_mov_b32_e32 v2, 1
	s_waitcnt vmcnt(0) lgkmcnt(0)
	global_store_dword v[0:1], v2, off
	s_and_b64 exec, exec, s[4:5]
	s_cbranch_execz .LBB81_31
; %bb.48:
	s_mov_b64 s[4:5], exec
	v_add_u32_e32 v0, s12, v9
	s_brev_b32 s6, -2
.LBB81_49:                              ; =>This Inner Loop Header: Depth=1
	s_ff1_i32_b64 s7, s[4:5]
	v_readlane_b32 s10, v0, s7
	s_lshl_b64 s[8:9], 1, s7
	s_min_i32 s6, s6, s10
	s_andn2_b64 s[4:5], s[4:5], s[8:9]
	s_cmp_lg_u64 s[4:5], 0
	s_cbranch_scc1 .LBB81_49
; %bb.50:
	v_mbcnt_lo_u32_b32 v0, exec_lo, 0
	v_mbcnt_hi_u32_b32 v0, exec_hi, v0
	v_cmp_eq_u32_e32 vcc, 0, v0
	s_and_saveexec_b64 s[4:5], vcc
	s_xor_b64 s[4:5], exec, s[4:5]
	s_cbranch_execz .LBB81_31
; %bb.51:
	v_mov_b32_e32 v0, 0
	v_mov_b32_e32 v1, s6
	global_atomic_smin v0, v1, s[24:25]
	s_endpgm
	.section	.rodata,"a",@progbits
	.p2align	6, 0x0
	.amdhsa_kernel _ZN9rocsparseL18bsrsv_lower_sharedILj128ELj64ELi32ELb0E21rocsparse_complex_numIdEEEviNS_24const_host_device_scalarIT3_EEPKiS7_PKS4_iS9_PS4_PiSB_SB_21rocsparse_index_base_20rocsparse_diag_type_20rocsparse_direction_b
		.amdhsa_group_segment_fixed_size 33792
		.amdhsa_private_segment_fixed_size 16
		.amdhsa_kernarg_size 112
		.amdhsa_user_sgpr_count 8
		.amdhsa_user_sgpr_private_segment_buffer 1
		.amdhsa_user_sgpr_dispatch_ptr 0
		.amdhsa_user_sgpr_queue_ptr 0
		.amdhsa_user_sgpr_kernarg_segment_ptr 1
		.amdhsa_user_sgpr_dispatch_id 0
		.amdhsa_user_sgpr_flat_scratch_init 1
		.amdhsa_user_sgpr_private_segment_size 0
		.amdhsa_uses_dynamic_stack 0
		.amdhsa_system_sgpr_private_segment_wavefront_offset 1
		.amdhsa_system_sgpr_workgroup_id_x 1
		.amdhsa_system_sgpr_workgroup_id_y 0
		.amdhsa_system_sgpr_workgroup_id_z 0
		.amdhsa_system_sgpr_workgroup_info 0
		.amdhsa_system_vgpr_workitem_id 0
		.amdhsa_next_free_vgpr 129
		.amdhsa_next_free_sgpr 96
		.amdhsa_reserve_vcc 1
		.amdhsa_reserve_flat_scratch 1
		.amdhsa_float_round_mode_32 0
		.amdhsa_float_round_mode_16_64 0
		.amdhsa_float_denorm_mode_32 3
		.amdhsa_float_denorm_mode_16_64 3
		.amdhsa_dx10_clamp 1
		.amdhsa_ieee_mode 1
		.amdhsa_fp16_overflow 0
		.amdhsa_exception_fp_ieee_invalid_op 0
		.amdhsa_exception_fp_denorm_src 0
		.amdhsa_exception_fp_ieee_div_zero 0
		.amdhsa_exception_fp_ieee_overflow 0
		.amdhsa_exception_fp_ieee_underflow 0
		.amdhsa_exception_fp_ieee_inexact 0
		.amdhsa_exception_int_div_zero 0
	.end_amdhsa_kernel
	.section	.text._ZN9rocsparseL18bsrsv_lower_sharedILj128ELj64ELi32ELb0E21rocsparse_complex_numIdEEEviNS_24const_host_device_scalarIT3_EEPKiS7_PKS4_iS9_PS4_PiSB_SB_21rocsparse_index_base_20rocsparse_diag_type_20rocsparse_direction_b,"axG",@progbits,_ZN9rocsparseL18bsrsv_lower_sharedILj128ELj64ELi32ELb0E21rocsparse_complex_numIdEEEviNS_24const_host_device_scalarIT3_EEPKiS7_PKS4_iS9_PS4_PiSB_SB_21rocsparse_index_base_20rocsparse_diag_type_20rocsparse_direction_b,comdat
.Lfunc_end81:
	.size	_ZN9rocsparseL18bsrsv_lower_sharedILj128ELj64ELi32ELb0E21rocsparse_complex_numIdEEEviNS_24const_host_device_scalarIT3_EEPKiS7_PKS4_iS9_PS4_PiSB_SB_21rocsparse_index_base_20rocsparse_diag_type_20rocsparse_direction_b, .Lfunc_end81-_ZN9rocsparseL18bsrsv_lower_sharedILj128ELj64ELi32ELb0E21rocsparse_complex_numIdEEEviNS_24const_host_device_scalarIT3_EEPKiS7_PKS4_iS9_PS4_PiSB_SB_21rocsparse_index_base_20rocsparse_diag_type_20rocsparse_direction_b
                                        ; -- End function
	.set _ZN9rocsparseL18bsrsv_lower_sharedILj128ELj64ELi32ELb0E21rocsparse_complex_numIdEEEviNS_24const_host_device_scalarIT3_EEPKiS7_PKS4_iS9_PS4_PiSB_SB_21rocsparse_index_base_20rocsparse_diag_type_20rocsparse_direction_b.num_vgpr, 37
	.set _ZN9rocsparseL18bsrsv_lower_sharedILj128ELj64ELi32ELb0E21rocsparse_complex_numIdEEEviNS_24const_host_device_scalarIT3_EEPKiS7_PKS4_iS9_PS4_PiSB_SB_21rocsparse_index_base_20rocsparse_diag_type_20rocsparse_direction_b.num_agpr, 0
	.set _ZN9rocsparseL18bsrsv_lower_sharedILj128ELj64ELi32ELb0E21rocsparse_complex_numIdEEEviNS_24const_host_device_scalarIT3_EEPKiS7_PKS4_iS9_PS4_PiSB_SB_21rocsparse_index_base_20rocsparse_diag_type_20rocsparse_direction_b.numbered_sgpr, 39
	.set _ZN9rocsparseL18bsrsv_lower_sharedILj128ELj64ELi32ELb0E21rocsparse_complex_numIdEEEviNS_24const_host_device_scalarIT3_EEPKiS7_PKS4_iS9_PS4_PiSB_SB_21rocsparse_index_base_20rocsparse_diag_type_20rocsparse_direction_b.num_named_barrier, 0
	.set _ZN9rocsparseL18bsrsv_lower_sharedILj128ELj64ELi32ELb0E21rocsparse_complex_numIdEEEviNS_24const_host_device_scalarIT3_EEPKiS7_PKS4_iS9_PS4_PiSB_SB_21rocsparse_index_base_20rocsparse_diag_type_20rocsparse_direction_b.private_seg_size, 16
	.set _ZN9rocsparseL18bsrsv_lower_sharedILj128ELj64ELi32ELb0E21rocsparse_complex_numIdEEEviNS_24const_host_device_scalarIT3_EEPKiS7_PKS4_iS9_PS4_PiSB_SB_21rocsparse_index_base_20rocsparse_diag_type_20rocsparse_direction_b.uses_vcc, 1
	.set _ZN9rocsparseL18bsrsv_lower_sharedILj128ELj64ELi32ELb0E21rocsparse_complex_numIdEEEviNS_24const_host_device_scalarIT3_EEPKiS7_PKS4_iS9_PS4_PiSB_SB_21rocsparse_index_base_20rocsparse_diag_type_20rocsparse_direction_b.uses_flat_scratch, 1
	.set _ZN9rocsparseL18bsrsv_lower_sharedILj128ELj64ELi32ELb0E21rocsparse_complex_numIdEEEviNS_24const_host_device_scalarIT3_EEPKiS7_PKS4_iS9_PS4_PiSB_SB_21rocsparse_index_base_20rocsparse_diag_type_20rocsparse_direction_b.has_dyn_sized_stack, 0
	.set _ZN9rocsparseL18bsrsv_lower_sharedILj128ELj64ELi32ELb0E21rocsparse_complex_numIdEEEviNS_24const_host_device_scalarIT3_EEPKiS7_PKS4_iS9_PS4_PiSB_SB_21rocsparse_index_base_20rocsparse_diag_type_20rocsparse_direction_b.has_recursion, 0
	.set _ZN9rocsparseL18bsrsv_lower_sharedILj128ELj64ELi32ELb0E21rocsparse_complex_numIdEEEviNS_24const_host_device_scalarIT3_EEPKiS7_PKS4_iS9_PS4_PiSB_SB_21rocsparse_index_base_20rocsparse_diag_type_20rocsparse_direction_b.has_indirect_call, 0
	.section	.AMDGPU.csdata,"",@progbits
; Kernel info:
; codeLenInByte = 3480
; TotalNumSgprs: 45
; NumVgprs: 37
; ScratchSize: 16
; MemoryBound: 1
; FloatMode: 240
; IeeeMode: 1
; LDSByteSize: 33792 bytes/workgroup (compile time only)
; SGPRBlocks: 12
; VGPRBlocks: 32
; NumSGPRsForWavesPerEU: 102
; NumVGPRsForWavesPerEU: 129
; Occupancy: 1
; WaveLimiterHint : 1
; COMPUTE_PGM_RSRC2:SCRATCH_EN: 1
; COMPUTE_PGM_RSRC2:USER_SGPR: 8
; COMPUTE_PGM_RSRC2:TRAP_HANDLER: 0
; COMPUTE_PGM_RSRC2:TGID_X_EN: 1
; COMPUTE_PGM_RSRC2:TGID_Y_EN: 0
; COMPUTE_PGM_RSRC2:TGID_Z_EN: 0
; COMPUTE_PGM_RSRC2:TIDIG_COMP_CNT: 0
	.section	.text._ZN9rocsparseL18bsrsv_upper_sharedILj128ELj64ELi32ELb1E21rocsparse_complex_numIdEEEviNS_24const_host_device_scalarIT3_EEPKiS7_PKS4_iS9_PS4_PiSB_SB_21rocsparse_index_base_20rocsparse_diag_type_20rocsparse_direction_b,"axG",@progbits,_ZN9rocsparseL18bsrsv_upper_sharedILj128ELj64ELi32ELb1E21rocsparse_complex_numIdEEEviNS_24const_host_device_scalarIT3_EEPKiS7_PKS4_iS9_PS4_PiSB_SB_21rocsparse_index_base_20rocsparse_diag_type_20rocsparse_direction_b,comdat
	.globl	_ZN9rocsparseL18bsrsv_upper_sharedILj128ELj64ELi32ELb1E21rocsparse_complex_numIdEEEviNS_24const_host_device_scalarIT3_EEPKiS7_PKS4_iS9_PS4_PiSB_SB_21rocsparse_index_base_20rocsparse_diag_type_20rocsparse_direction_b ; -- Begin function _ZN9rocsparseL18bsrsv_upper_sharedILj128ELj64ELi32ELb1E21rocsparse_complex_numIdEEEviNS_24const_host_device_scalarIT3_EEPKiS7_PKS4_iS9_PS4_PiSB_SB_21rocsparse_index_base_20rocsparse_diag_type_20rocsparse_direction_b
	.p2align	8
	.type	_ZN9rocsparseL18bsrsv_upper_sharedILj128ELj64ELi32ELb1E21rocsparse_complex_numIdEEEviNS_24const_host_device_scalarIT3_EEPKiS7_PKS4_iS9_PS4_PiSB_SB_21rocsparse_index_base_20rocsparse_diag_type_20rocsparse_direction_b,@function
_ZN9rocsparseL18bsrsv_upper_sharedILj128ELj64ELi32ELb1E21rocsparse_complex_numIdEEEviNS_24const_host_device_scalarIT3_EEPKiS7_PKS4_iS9_PS4_PiSB_SB_21rocsparse_index_base_20rocsparse_diag_type_20rocsparse_direction_b: ; @_ZN9rocsparseL18bsrsv_upper_sharedILj128ELj64ELi32ELb1E21rocsparse_complex_numIdEEEviNS_24const_host_device_scalarIT3_EEPKiS7_PKS4_iS9_PS4_PiSB_SB_21rocsparse_index_base_20rocsparse_diag_type_20rocsparse_direction_b
; %bb.0:
	s_add_u32 flat_scratch_lo, s6, s9
	s_load_dwordx4 s[12:15], s[4:5], 0x60
	s_load_dwordx4 s[16:19], s[4:5], 0x8
	s_addc_u32 flat_scratch_hi, s7, 0
	s_add_u32 s0, s0, s9
	s_addc_u32 s1, s1, 0
	s_waitcnt lgkmcnt(0)
	s_bitcmp1_b32 s15, 0
	s_cselect_b64 s[10:11], -1, 0
	s_mov_b64 s[6:7], src_private_base
	v_mov_b32_e32 v1, s17
	s_and_b64 vcc, s[10:11], exec
	buffer_store_dword v1, off, s[0:3], 0 offset:4
	v_mov_b32_e32 v1, s16
	s_cselect_b32 s6, s7, s17
	s_cselect_b32 s7, 0, s16
	buffer_store_dword v1, off, s[0:3], 0
	v_mov_b32_e32 v1, s7
	v_mov_b32_e32 v2, s6
	flat_load_dwordx2 v[1:2], v[1:2]
	v_mov_b32_e32 v7, s18
	v_mov_b32_e32 v8, s19
	s_cbranch_vccnz .LBB82_2
; %bb.1:
	v_mov_b32_e32 v3, s16
	v_mov_b32_e32 v4, s17
	flat_load_dwordx2 v[7:8], v[3:4] offset:8
.LBB82_2:
	s_load_dword s9, s[4:5], 0x0
	s_lshl_b32 s6, s8, 1
	v_lshrrev_b32_e32 v15, 6, v0
	s_and_b32 s6, s6, 0x3fffffe
	v_or_b32_e32 v3, s6, v15
	s_waitcnt lgkmcnt(0)
	v_cmp_gt_i32_e32 vcc, s9, v3
	s_and_saveexec_b64 s[6:7], vcc
	s_cbranch_execz .LBB82_33
; %bb.3:
	s_load_dwordx2 s[6:7], s[4:5], 0x50
	s_load_dwordx4 s[16:19], s[4:5], 0x40
	v_lshlrev_b32_e32 v3, 2, v3
	v_and_b32_e32 v12, 63, v0
	v_mov_b32_e32 v5, 0
	s_waitcnt lgkmcnt(0)
	global_load_dword v9, v3, s[6:7]
	s_load_dwordx2 s[6:7], s[4:5], 0x18
	s_load_dword s33, s[4:5], 0x30
	v_mov_b32_e32 v6, 0
	s_waitcnt lgkmcnt(0)
	v_mov_b32_e32 v4, s7
	v_cmp_gt_i32_e64 s[10:11], s33, v12
	s_waitcnt vmcnt(0)
	v_ashrrev_i32_e32 v10, 31, v9
	v_lshlrev_b64 v[10:11], 2, v[9:10]
	v_add_co_u32_e32 v3, vcc, s6, v10
	v_addc_co_u32_e32 v4, vcc, v4, v11, vcc
	global_load_dwordx2 v[13:14], v[3:4], off
	v_mov_b32_e32 v3, 0
	v_mov_b32_e32 v4, 0
	s_and_saveexec_b64 s[6:7], s[10:11]
	s_cbranch_execz .LBB82_5
; %bb.4:
	s_waitcnt vmcnt(0)
	v_mad_u64_u32 v[3:4], s[20:21], v9, s33, v[12:13]
	s_load_dwordx2 s[20:21], s[4:5], 0x38
	v_ashrrev_i32_e32 v4, 31, v3
	v_lshlrev_b64 v[3:4], 4, v[3:4]
	s_waitcnt lgkmcnt(0)
	v_mov_b32_e32 v5, s21
	v_add_co_u32_e32 v3, vcc, s20, v3
	v_addc_co_u32_e32 v4, vcc, v5, v4, vcc
	global_load_dwordx4 v[3:6], v[3:4], off
.LBB82_5:
	s_or_b64 exec, exec, s[6:7]
	s_waitcnt vmcnt(0)
	v_mul_f64 v[16:17], v[5:6], -v[7:8]
	v_mul_f64 v[5:6], v[1:2], v[5:6]
	s_load_dwordx2 s[24:25], s[4:5], 0x58
	v_subrev_u32_e32 v18, s12, v13
	v_xad_u32 v13, s12, -1, v14
	v_cmp_ge_i32_e32 vcc, v13, v18
	v_mov_b32_e32 v14, s9
	v_fma_f64 v[1:2], v[1:2], v[3:4], v[16:17]
	v_fma_f64 v[3:4], v[7:8], v[3:4], v[5:6]
	v_lshlrev_b32_e32 v16, 14, v15
	v_lshlrev_b32_e32 v17, 4, v12
	s_and_saveexec_b64 s[26:27], vcc
	s_cbranch_execz .LBB82_30
; %bb.6:
	v_mov_b32_e32 v5, 0x8000
	v_and_b32_e32 v0, 31, v0
	s_load_dwordx4 s[20:23], s[4:5], 0x20
	v_lshl_or_b32 v19, v15, 9, v5
	v_mad_u64_u32 v[5:6], s[4:5], s33, v13, v[0:1]
	v_lshrrev_b32_e32 v20, 5, v12
	s_cmp_lg_u32 s14, 0
	v_mul_lo_u32 v23, s33, v5
	v_lshlrev_b32_e32 v5, 9, v20
	v_lshlrev_b32_e32 v6, 4, v0
	v_cmp_gt_i32_e64 s[6:7], s33, v0
	s_cselect_b64 s[14:15], -1, 0
	v_cmp_gt_u32_e64 s[8:9], 32, v12
	v_add_u32_e32 v21, v19, v17
	v_add_u32_e32 v22, v16, v17
	s_mul_i32 s38, s33, s33
	v_add3_u32 v24, v16, v5, v6
	s_mov_b64 s[28:29], 0
	s_waitcnt lgkmcnt(0)
	v_mov_b32_e32 v25, s21
	s_branch .LBB82_9
.LBB82_7:                               ;   in Loop: Header=BB82_9 Depth=1
	s_or_b64 exec, exec, s[4:5]
.LBB82_8:                               ;   in Loop: Header=BB82_9 Depth=1
	s_or_b64 exec, exec, s[30:31]
	v_cmp_le_i32_e64 s[4:5], v13, v18
	s_xor_b64 s[30:31], vcc, -1
	s_or_b64 s[4:5], s[30:31], s[4:5]
	v_add_u32_e32 v5, -1, v13
	s_and_b64 s[4:5], exec, s[4:5]
	v_subrev_u32_e32 v23, s38, v23
	s_or_b64 s[28:29], s[4:5], s[28:29]
	v_mov_b32_e32 v13, v5
	s_andn2_b64 exec, exec, s[28:29]
	s_cbranch_execz .LBB82_29
.LBB82_9:                               ; =>This Loop Header: Depth=1
                                        ;     Child Loop BB82_12 Depth 2
                                        ;     Child Loop BB82_21 Depth 2
                                        ;       Child Loop BB82_22 Depth 3
	v_ashrrev_i32_e32 v14, 31, v13
	v_lshlrev_b64 v[5:6], 2, v[13:14]
	v_mul_lo_u32 v15, v13, s33
	v_add_co_u32_e32 v5, vcc, s20, v5
	v_addc_co_u32_e32 v6, vcc, v25, v6, vcc
	global_load_dword v14, v[5:6], off
	s_mov_b64 s[4:5], 0
	v_mov_b32_e32 v26, v24
	v_mov_b32_e32 v27, v20
	s_branch .LBB82_12
.LBB82_10:                              ;   in Loop: Header=BB82_12 Depth=2
	v_ashrrev_i32_e32 v6, 31, v5
	v_lshlrev_b64 v[5:6], 4, v[5:6]
	v_mov_b32_e32 v7, s23
	v_add_co_u32_e32 v5, vcc, s22, v5
	v_addc_co_u32_e32 v6, vcc, v7, v6, vcc
	global_load_dwordx4 v[5:8], v[5:6], off
.LBB82_11:                              ;   in Loop: Header=BB82_12 Depth=2
	s_or_b64 exec, exec, s[30:31]
	s_waitcnt vmcnt(0)
	ds_write_b128 v26, v[5:8]
	v_add_u32_e32 v5, 2, v27
	v_cmp_lt_u32_e32 vcc, 29, v27
	v_add_u32_e32 v26, 0x400, v26
	s_or_b64 s[4:5], vcc, s[4:5]
	v_mov_b32_e32 v27, v5
	s_andn2_b64 exec, exec, s[4:5]
	s_cbranch_execz .LBB82_17
.LBB82_12:                              ;   Parent Loop BB82_9 Depth=1
                                        ; =>  This Inner Loop Header: Depth=2
	v_cmp_gt_i32_e32 vcc, s33, v27
	v_mov_b32_e32 v5, 0
	v_mov_b32_e32 v7, 0
	;; [unrolled: 1-line block ×4, first 2 shown]
	s_and_b64 s[34:35], s[6:7], vcc
	s_and_saveexec_b64 s[30:31], s[34:35]
	s_cbranch_execz .LBB82_11
; %bb.13:                               ;   in Loop: Header=BB82_12 Depth=2
	s_and_b64 vcc, exec, s[14:15]
	s_cbranch_vccz .LBB82_15
; %bb.14:                               ;   in Loop: Header=BB82_12 Depth=2
	v_add_u32_e32 v5, v27, v15
	v_mad_u64_u32 v[5:6], s[34:35], v5, s33, v[0:1]
	s_cbranch_execnz .LBB82_10
	s_branch .LBB82_16
.LBB82_15:                              ;   in Loop: Header=BB82_12 Depth=2
                                        ; implicit-def: $vgpr5
.LBB82_16:                              ;   in Loop: Header=BB82_12 Depth=2
	v_add_u32_e32 v5, v23, v27
	s_branch .LBB82_10
.LBB82_17:                              ;   in Loop: Header=BB82_9 Depth=1
	s_or_b64 exec, exec, s[4:5]
	v_subrev_u32_e32 v14, s12, v14
	v_cmp_gt_i32_e32 vcc, v14, v9
	s_and_saveexec_b64 s[30:31], vcc
	s_cbranch_execz .LBB82_8
; %bb.18:                               ;   in Loop: Header=BB82_9 Depth=1
	v_ashrrev_i32_e32 v15, 31, v14
	v_lshlrev_b64 v[5:6], 2, v[14:15]
	v_mov_b32_e32 v7, s19
	v_add_co_u32_e64 v5, s[4:5], s18, v5
	v_addc_co_u32_e64 v6, s[4:5], v7, v6, s[4:5]
	global_load_dword v7, v[5:6], off glc
	s_waitcnt vmcnt(0)
	v_cmp_eq_u32_e64 s[4:5], 0, v7
	s_and_saveexec_b64 s[34:35], s[4:5]
	s_cbranch_execz .LBB82_23
; %bb.19:                               ;   in Loop: Header=BB82_9 Depth=1
	s_mov_b32 s21, 0
	s_mov_b64 s[36:37], 0
	s_branch .LBB82_21
.LBB82_20:                              ;   in Loop: Header=BB82_21 Depth=2
	global_load_dword v7, v[5:6], off glc
	s_cmpk_lt_u32 s21, 0xf43
	s_cselect_b64 s[4:5], -1, 0
	s_cmp_lg_u64 s[4:5], 0
	s_addc_u32 s21, s21, 0
	s_waitcnt vmcnt(0)
	v_cmp_ne_u32_e64 s[4:5], 0, v7
	s_or_b64 s[36:37], s[4:5], s[36:37]
	s_andn2_b64 exec, exec, s[36:37]
	s_cbranch_execz .LBB82_23
.LBB82_21:                              ;   Parent Loop BB82_9 Depth=1
                                        ; =>  This Loop Header: Depth=2
                                        ;       Child Loop BB82_22 Depth 3
	s_cmp_eq_u32 s21, 0
	s_mov_b32 s4, s21
	s_cbranch_scc1 .LBB82_20
.LBB82_22:                              ;   Parent Loop BB82_9 Depth=1
                                        ;     Parent Loop BB82_21 Depth=2
                                        ; =>    This Inner Loop Header: Depth=3
	s_add_i32 s4, s4, -1
	s_cmp_eq_u32 s4, 0
	s_sleep 1
	s_cbranch_scc0 .LBB82_22
	s_branch .LBB82_20
.LBB82_23:                              ;   in Loop: Header=BB82_9 Depth=1
	s_or_b64 exec, exec, s[34:35]
	s_waitcnt lgkmcnt(0)
	buffer_wbinvl1_vol
	s_and_saveexec_b64 s[34:35], s[8:9]
	s_cbranch_execz .LBB82_27
; %bb.24:                               ;   in Loop: Header=BB82_9 Depth=1
	v_mov_b32_e32 v7, 0
	v_mov_b32_e32 v5, 0
	;; [unrolled: 1-line block ×4, first 2 shown]
	s_and_saveexec_b64 s[36:37], s[10:11]
	s_cbranch_execz .LBB82_26
; %bb.25:                               ;   in Loop: Header=BB82_9 Depth=1
	v_mad_u64_u32 v[5:6], s[4:5], v14, s33, v[12:13]
	v_mov_b32_e32 v7, s17
	v_ashrrev_i32_e32 v6, 31, v5
	v_lshlrev_b64 v[5:6], 4, v[5:6]
	v_add_co_u32_e64 v5, s[4:5], s16, v5
	v_addc_co_u32_e64 v6, s[4:5], v7, v6, s[4:5]
	global_load_dwordx4 v[5:8], v[5:6], off
.LBB82_26:                              ;   in Loop: Header=BB82_9 Depth=1
	s_or_b64 exec, exec, s[36:37]
	s_waitcnt vmcnt(0)
	ds_write_b128 v21, v[5:8]
.LBB82_27:                              ;   in Loop: Header=BB82_9 Depth=1
	s_or_b64 exec, exec, s[34:35]
	s_waitcnt lgkmcnt(0)
	s_and_saveexec_b64 s[4:5], s[10:11]
	s_cbranch_execz .LBB82_7
; %bb.28:                               ;   in Loop: Header=BB82_9 Depth=1
	ds_read_b128 v[5:8], v22
	ds_read_b128 v[26:29], v19
	ds_read_b128 v[30:33], v19 offset:16
	ds_read_b128 v[34:37], v22 offset:512
	s_waitcnt lgkmcnt(2)
	v_fma_f64 v[1:2], -v[5:6], v[26:27], v[1:2]
	v_fma_f64 v[3:4], -v[7:8], v[26:27], v[3:4]
	v_fma_f64 v[1:2], v[7:8], v[28:29], v[1:2]
	v_fma_f64 v[3:4], -v[5:6], v[28:29], v[3:4]
	s_waitcnt lgkmcnt(0)
	v_fma_f64 v[1:2], -v[34:35], v[30:31], v[1:2]
	v_fma_f64 v[3:4], -v[36:37], v[30:31], v[3:4]
	v_fma_f64 v[36:37], v[36:37], v[32:33], v[1:2]
	v_fma_f64 v[34:35], -v[34:35], v[32:33], v[3:4]
	ds_read_b128 v[1:4], v22 offset:1024
	ds_read_b128 v[5:8], v19 offset:32
	ds_read_b128 v[26:29], v19 offset:48
	ds_read_b128 v[30:33], v22 offset:1536
	s_waitcnt lgkmcnt(2)
	v_fma_f64 v[36:37], -v[1:2], v[5:6], v[36:37]
	v_fma_f64 v[5:6], -v[3:4], v[5:6], v[34:35]
	v_fma_f64 v[3:4], v[3:4], v[7:8], v[36:37]
	v_fma_f64 v[1:2], -v[1:2], v[7:8], v[5:6]
	s_waitcnt lgkmcnt(0)
	v_fma_f64 v[3:4], -v[30:31], v[26:27], v[3:4]
	v_fma_f64 v[1:2], -v[32:33], v[26:27], v[1:2]
	v_fma_f64 v[34:35], v[32:33], v[28:29], v[3:4]
	v_fma_f64 v[36:37], -v[30:31], v[28:29], v[1:2]
	ds_read_b128 v[1:4], v19 offset:64
	ds_read_b128 v[5:8], v22 offset:2048
	;; [unrolled: 14-line block ×15, first 2 shown]
	ds_read_b128 v[26:29], v22 offset:15872
	ds_read_b128 v[30:33], v19 offset:496
	s_waitcnt lgkmcnt(2)
	v_fma_f64 v[34:35], -v[5:6], v[1:2], v[34:35]
	v_fma_f64 v[1:2], -v[7:8], v[1:2], v[36:37]
	v_fma_f64 v[7:8], v[7:8], v[3:4], v[34:35]
	v_fma_f64 v[1:2], -v[5:6], v[3:4], v[1:2]
	s_waitcnt lgkmcnt(0)
	v_fma_f64 v[3:4], -v[26:27], v[30:31], v[7:8]
	v_fma_f64 v[5:6], -v[28:29], v[30:31], v[1:2]
	v_fma_f64 v[1:2], v[28:29], v[32:33], v[3:4]
	v_fma_f64 v[3:4], -v[26:27], v[32:33], v[5:6]
	s_branch .LBB82_7
.LBB82_29:
	s_or_b64 exec, exec, s[28:29]
.LBB82_30:
	s_or_b64 exec, exec, s[26:27]
	s_cmp_gt_i32 s33, 0
	v_cmp_eq_u32_e32 vcc, v14, v9
	s_cselect_b64 s[4:5], -1, 0
	s_and_b64 s[6:7], s[4:5], vcc
	s_mov_b64 s[4:5], 0
	s_and_saveexec_b64 s[8:9], s[6:7]
	s_cbranch_execnz .LBB82_34
; %bb.31:
	s_or_b64 exec, exec, s[8:9]
	s_and_saveexec_b64 s[6:7], s[10:11]
	s_cbranch_execnz .LBB82_48
.LBB82_32:
	s_or_b64 exec, exec, s[6:7]
	v_cmp_eq_u32_e32 vcc, 0, v12
	s_and_b64 exec, exec, vcc
	s_cbranch_execnz .LBB82_49
.LBB82_33:
	s_endpgm
.LBB82_34:
	v_lshl_add_u32 v5, s33, 9, v16
	s_movk_i32 s6, 0xfe00
	s_cmp_eq_u32 s13, 0
	v_add3_u32 v17, v5, v17, s6
	s_mul_i32 s6, s33, 0x210
	s_cselect_b64 s[4:5], -1, 0
	v_mbcnt_lo_u32_b32 v0, -1, 0
	v_add_u32_e32 v5, s6, v16
	v_mbcnt_hi_u32_b32 v0, -1, v0
	v_add_u32_e32 v18, 0xfffffdf0, v5
	v_cndmask_b32_e64 v5, 0, 1, s[4:5]
	v_and_b32_e32 v0, 64, v0
	s_add_i32 s13, s33, -1
	s_mov_b64 s[20:21], 0
	v_cmp_ne_u32_e64 s[6:7], 1, v5
                                        ; implicit-def: $sgpr14_sgpr15
	s_and_b64 vcc, exec, s[6:7]
	s_cbranch_vccz .LBB82_36
.LBB82_35:
	v_mov_b32_e32 v5, 0
	v_mov_b32_e32 v7, 0
	;; [unrolled: 1-line block ×4, first 2 shown]
	s_branch .LBB82_37
.LBB82_36:
	ds_read_b128 v[5:8], v18
.LBB82_37:
	s_waitcnt lgkmcnt(0)
	v_cmp_neq_f64_e32 vcc, 0, v[5:6]
	v_cmp_neq_f64_e64 s[4:5], 0, v[7:8]
	v_and_or_b32 v13, s13, 63, v0
	v_lshlrev_b32_e32 v14, 2, v13
	ds_bpermute_b32 v15, v14, v1
	ds_bpermute_b32 v16, v14, v2
	;; [unrolled: 1-line block ×4, first 2 shown]
	s_or_b64 s[14:15], s[14:15], exec
	s_or_b64 s[22:23], vcc, s[4:5]
	s_and_saveexec_b64 s[4:5], s[22:23]
	s_cbranch_execz .LBB82_39
; %bb.38:
	v_mul_f64 v[19:20], v[7:8], v[7:8]
	s_andn2_b64 s[14:15], s[14:15], exec
	s_and_b64 s[20:21], s[20:21], exec
	s_or_b64 s[14:15], s[14:15], s[20:21]
	v_fma_f64 v[19:20], v[5:6], v[5:6], v[19:20]
	v_div_scale_f64 v[21:22], s[22:23], v[19:20], v[19:20], 1.0
	v_rcp_f64_e32 v[23:24], v[21:22]
	v_fma_f64 v[25:26], -v[21:22], v[23:24], 1.0
	v_fma_f64 v[23:24], v[23:24], v[25:26], v[23:24]
	v_div_scale_f64 v[25:26], vcc, 1.0, v[19:20], 1.0
	v_fma_f64 v[27:28], -v[21:22], v[23:24], 1.0
	v_fma_f64 v[23:24], v[23:24], v[27:28], v[23:24]
	v_mul_f64 v[27:28], v[25:26], v[23:24]
	v_fma_f64 v[21:22], -v[21:22], v[27:28], v[25:26]
	v_div_fmas_f64 v[21:22], v[21:22], v[23:24], v[27:28]
	s_waitcnt lgkmcnt(0)
	v_mul_f64 v[23:24], v[7:8], v[13:14]
	v_mul_f64 v[7:8], v[7:8], -v[15:16]
	v_fma_f64 v[15:16], v[15:16], v[5:6], v[23:24]
	v_fma_f64 v[5:6], v[13:14], v[5:6], v[7:8]
	v_div_fixup_f64 v[19:20], v[21:22], v[19:20], 1.0
	v_mul_f64 v[15:16], v[19:20], v[15:16]
	v_mul_f64 v[13:14], v[19:20], v[5:6]
.LBB82_39:
	s_or_b64 exec, exec, s[4:5]
	s_and_saveexec_b64 s[4:5], s[10:11]
	s_cbranch_execz .LBB82_45
; %bb.40:
	v_cmp_le_i32_e32 vcc, s13, v12
	s_and_saveexec_b64 s[20:21], vcc
	s_xor_b64 s[20:21], exec, s[20:21]
	s_cbranch_execz .LBB82_42
; %bb.41:
	v_cmp_eq_u32_e32 vcc, s13, v12
	s_waitcnt lgkmcnt(2)
	v_cndmask_b32_e32 v2, v2, v16, vcc
	v_cndmask_b32_e32 v1, v1, v15, vcc
	s_waitcnt lgkmcnt(0)
	v_cndmask_b32_e32 v4, v4, v14, vcc
	v_cndmask_b32_e32 v3, v3, v13, vcc
                                        ; implicit-def: $vgpr15_vgpr16
                                        ; implicit-def: $vgpr13_vgpr14
.LBB82_42:
	s_andn2_saveexec_b64 s[20:21], s[20:21]
	s_cbranch_execz .LBB82_44
; %bb.43:
	ds_read_b128 v[5:8], v17
	s_waitcnt lgkmcnt(0)
	v_fma_f64 v[1:2], -v[15:16], v[5:6], v[1:2]
	v_fma_f64 v[3:4], -v[13:14], v[5:6], v[3:4]
	v_fma_f64 v[1:2], v[13:14], v[7:8], v[1:2]
	v_fma_f64 v[3:4], -v[15:16], v[7:8], v[3:4]
.LBB82_44:
	s_or_b64 exec, exec, s[20:21]
.LBB82_45:
	s_or_b64 exec, exec, s[4:5]
	s_add_i32 s4, s13, -1
	s_add_i32 s5, s13, 1
	v_add_u32_e32 v17, 0xfffffe00, v17
	s_cmp_gt_u32 s5, 1
	v_add_u32_e32 v18, 0xfffffdf0, v18
	s_cbranch_scc0 .LBB82_47
; %bb.46:
	s_mov_b64 s[20:21], s[14:15]
	s_mov_b32 s13, s4
	s_and_b64 vcc, exec, s[6:7]
	s_cbranch_vccnz .LBB82_35
	s_branch .LBB82_36
.LBB82_47:
	s_and_b64 s[4:5], s[14:15], exec
	s_or_b64 exec, exec, s[8:9]
	s_and_saveexec_b64 s[6:7], s[10:11]
	s_cbranch_execz .LBB82_32
.LBB82_48:
	s_waitcnt lgkmcnt(0)
	v_mad_u64_u32 v[5:6], s[8:9], v9, s33, v[12:13]
	v_mov_b32_e32 v0, s17
	v_ashrrev_i32_e32 v6, 31, v5
	v_lshlrev_b64 v[5:6], 4, v[5:6]
	v_add_co_u32_e32 v5, vcc, s16, v5
	v_addc_co_u32_e32 v6, vcc, v0, v6, vcc
	global_store_dwordx4 v[5:6], v[1:4], off
	s_or_b64 exec, exec, s[6:7]
	v_cmp_eq_u32_e32 vcc, 0, v12
	s_and_b64 exec, exec, vcc
	s_cbranch_execz .LBB82_33
.LBB82_49:
	v_mov_b32_e32 v1, s19
	v_add_co_u32_e32 v0, vcc, s18, v10
	v_addc_co_u32_e32 v1, vcc, v1, v11, vcc
	v_mov_b32_e32 v2, 1
	s_waitcnt vmcnt(0) lgkmcnt(0)
	global_store_dword v[0:1], v2, off
	s_and_b64 exec, exec, s[4:5]
	s_cbranch_execz .LBB82_33
; %bb.50:
	s_mov_b64 s[4:5], exec
	v_add_u32_e32 v0, s12, v9
	s_brev_b32 s6, -2
.LBB82_51:                              ; =>This Inner Loop Header: Depth=1
	s_ff1_i32_b64 s7, s[4:5]
	v_readlane_b32 s10, v0, s7
	s_lshl_b64 s[8:9], 1, s7
	s_min_i32 s6, s6, s10
	s_andn2_b64 s[4:5], s[4:5], s[8:9]
	s_cmp_lg_u64 s[4:5], 0
	s_cbranch_scc1 .LBB82_51
; %bb.52:
	v_mbcnt_lo_u32_b32 v0, exec_lo, 0
	v_mbcnt_hi_u32_b32 v0, exec_hi, v0
	v_cmp_eq_u32_e32 vcc, 0, v0
	s_and_saveexec_b64 s[4:5], vcc
	s_xor_b64 s[4:5], exec, s[4:5]
	s_cbranch_execz .LBB82_33
; %bb.53:
	v_mov_b32_e32 v0, 0
	v_mov_b32_e32 v1, s6
	global_atomic_smin v0, v1, s[24:25]
	s_endpgm
	.section	.rodata,"a",@progbits
	.p2align	6, 0x0
	.amdhsa_kernel _ZN9rocsparseL18bsrsv_upper_sharedILj128ELj64ELi32ELb1E21rocsparse_complex_numIdEEEviNS_24const_host_device_scalarIT3_EEPKiS7_PKS4_iS9_PS4_PiSB_SB_21rocsparse_index_base_20rocsparse_diag_type_20rocsparse_direction_b
		.amdhsa_group_segment_fixed_size 33792
		.amdhsa_private_segment_fixed_size 16
		.amdhsa_kernarg_size 112
		.amdhsa_user_sgpr_count 8
		.amdhsa_user_sgpr_private_segment_buffer 1
		.amdhsa_user_sgpr_dispatch_ptr 0
		.amdhsa_user_sgpr_queue_ptr 0
		.amdhsa_user_sgpr_kernarg_segment_ptr 1
		.amdhsa_user_sgpr_dispatch_id 0
		.amdhsa_user_sgpr_flat_scratch_init 1
		.amdhsa_user_sgpr_private_segment_size 0
		.amdhsa_uses_dynamic_stack 0
		.amdhsa_system_sgpr_private_segment_wavefront_offset 1
		.amdhsa_system_sgpr_workgroup_id_x 1
		.amdhsa_system_sgpr_workgroup_id_y 0
		.amdhsa_system_sgpr_workgroup_id_z 0
		.amdhsa_system_sgpr_workgroup_info 0
		.amdhsa_system_vgpr_workitem_id 0
		.amdhsa_next_free_vgpr 129
		.amdhsa_next_free_sgpr 96
		.amdhsa_reserve_vcc 1
		.amdhsa_reserve_flat_scratch 1
		.amdhsa_float_round_mode_32 0
		.amdhsa_float_round_mode_16_64 0
		.amdhsa_float_denorm_mode_32 3
		.amdhsa_float_denorm_mode_16_64 3
		.amdhsa_dx10_clamp 1
		.amdhsa_ieee_mode 1
		.amdhsa_fp16_overflow 0
		.amdhsa_exception_fp_ieee_invalid_op 0
		.amdhsa_exception_fp_denorm_src 0
		.amdhsa_exception_fp_ieee_div_zero 0
		.amdhsa_exception_fp_ieee_overflow 0
		.amdhsa_exception_fp_ieee_underflow 0
		.amdhsa_exception_fp_ieee_inexact 0
		.amdhsa_exception_int_div_zero 0
	.end_amdhsa_kernel
	.section	.text._ZN9rocsparseL18bsrsv_upper_sharedILj128ELj64ELi32ELb1E21rocsparse_complex_numIdEEEviNS_24const_host_device_scalarIT3_EEPKiS7_PKS4_iS9_PS4_PiSB_SB_21rocsparse_index_base_20rocsparse_diag_type_20rocsparse_direction_b,"axG",@progbits,_ZN9rocsparseL18bsrsv_upper_sharedILj128ELj64ELi32ELb1E21rocsparse_complex_numIdEEEviNS_24const_host_device_scalarIT3_EEPKiS7_PKS4_iS9_PS4_PiSB_SB_21rocsparse_index_base_20rocsparse_diag_type_20rocsparse_direction_b,comdat
.Lfunc_end82:
	.size	_ZN9rocsparseL18bsrsv_upper_sharedILj128ELj64ELi32ELb1E21rocsparse_complex_numIdEEEviNS_24const_host_device_scalarIT3_EEPKiS7_PKS4_iS9_PS4_PiSB_SB_21rocsparse_index_base_20rocsparse_diag_type_20rocsparse_direction_b, .Lfunc_end82-_ZN9rocsparseL18bsrsv_upper_sharedILj128ELj64ELi32ELb1E21rocsparse_complex_numIdEEEviNS_24const_host_device_scalarIT3_EEPKiS7_PKS4_iS9_PS4_PiSB_SB_21rocsparse_index_base_20rocsparse_diag_type_20rocsparse_direction_b
                                        ; -- End function
	.set _ZN9rocsparseL18bsrsv_upper_sharedILj128ELj64ELi32ELb1E21rocsparse_complex_numIdEEEviNS_24const_host_device_scalarIT3_EEPKiS7_PKS4_iS9_PS4_PiSB_SB_21rocsparse_index_base_20rocsparse_diag_type_20rocsparse_direction_b.num_vgpr, 38
	.set _ZN9rocsparseL18bsrsv_upper_sharedILj128ELj64ELi32ELb1E21rocsparse_complex_numIdEEEviNS_24const_host_device_scalarIT3_EEPKiS7_PKS4_iS9_PS4_PiSB_SB_21rocsparse_index_base_20rocsparse_diag_type_20rocsparse_direction_b.num_agpr, 0
	.set _ZN9rocsparseL18bsrsv_upper_sharedILj128ELj64ELi32ELb1E21rocsparse_complex_numIdEEEviNS_24const_host_device_scalarIT3_EEPKiS7_PKS4_iS9_PS4_PiSB_SB_21rocsparse_index_base_20rocsparse_diag_type_20rocsparse_direction_b.numbered_sgpr, 39
	.set _ZN9rocsparseL18bsrsv_upper_sharedILj128ELj64ELi32ELb1E21rocsparse_complex_numIdEEEviNS_24const_host_device_scalarIT3_EEPKiS7_PKS4_iS9_PS4_PiSB_SB_21rocsparse_index_base_20rocsparse_diag_type_20rocsparse_direction_b.num_named_barrier, 0
	.set _ZN9rocsparseL18bsrsv_upper_sharedILj128ELj64ELi32ELb1E21rocsparse_complex_numIdEEEviNS_24const_host_device_scalarIT3_EEPKiS7_PKS4_iS9_PS4_PiSB_SB_21rocsparse_index_base_20rocsparse_diag_type_20rocsparse_direction_b.private_seg_size, 16
	.set _ZN9rocsparseL18bsrsv_upper_sharedILj128ELj64ELi32ELb1E21rocsparse_complex_numIdEEEviNS_24const_host_device_scalarIT3_EEPKiS7_PKS4_iS9_PS4_PiSB_SB_21rocsparse_index_base_20rocsparse_diag_type_20rocsparse_direction_b.uses_vcc, 1
	.set _ZN9rocsparseL18bsrsv_upper_sharedILj128ELj64ELi32ELb1E21rocsparse_complex_numIdEEEviNS_24const_host_device_scalarIT3_EEPKiS7_PKS4_iS9_PS4_PiSB_SB_21rocsparse_index_base_20rocsparse_diag_type_20rocsparse_direction_b.uses_flat_scratch, 1
	.set _ZN9rocsparseL18bsrsv_upper_sharedILj128ELj64ELi32ELb1E21rocsparse_complex_numIdEEEviNS_24const_host_device_scalarIT3_EEPKiS7_PKS4_iS9_PS4_PiSB_SB_21rocsparse_index_base_20rocsparse_diag_type_20rocsparse_direction_b.has_dyn_sized_stack, 0
	.set _ZN9rocsparseL18bsrsv_upper_sharedILj128ELj64ELi32ELb1E21rocsparse_complex_numIdEEEviNS_24const_host_device_scalarIT3_EEPKiS7_PKS4_iS9_PS4_PiSB_SB_21rocsparse_index_base_20rocsparse_diag_type_20rocsparse_direction_b.has_recursion, 0
	.set _ZN9rocsparseL18bsrsv_upper_sharedILj128ELj64ELi32ELb1E21rocsparse_complex_numIdEEEviNS_24const_host_device_scalarIT3_EEPKiS7_PKS4_iS9_PS4_PiSB_SB_21rocsparse_index_base_20rocsparse_diag_type_20rocsparse_direction_b.has_indirect_call, 0
	.section	.AMDGPU.csdata,"",@progbits
; Kernel info:
; codeLenInByte = 3588
; TotalNumSgprs: 45
; NumVgprs: 38
; ScratchSize: 16
; MemoryBound: 1
; FloatMode: 240
; IeeeMode: 1
; LDSByteSize: 33792 bytes/workgroup (compile time only)
; SGPRBlocks: 12
; VGPRBlocks: 32
; NumSGPRsForWavesPerEU: 102
; NumVGPRsForWavesPerEU: 129
; Occupancy: 1
; WaveLimiterHint : 1
; COMPUTE_PGM_RSRC2:SCRATCH_EN: 1
; COMPUTE_PGM_RSRC2:USER_SGPR: 8
; COMPUTE_PGM_RSRC2:TRAP_HANDLER: 0
; COMPUTE_PGM_RSRC2:TGID_X_EN: 1
; COMPUTE_PGM_RSRC2:TGID_Y_EN: 0
; COMPUTE_PGM_RSRC2:TGID_Z_EN: 0
; COMPUTE_PGM_RSRC2:TIDIG_COMP_CNT: 0
	.section	.text._ZN9rocsparseL18bsrsv_upper_sharedILj128ELj64ELi32ELb0E21rocsparse_complex_numIdEEEviNS_24const_host_device_scalarIT3_EEPKiS7_PKS4_iS9_PS4_PiSB_SB_21rocsparse_index_base_20rocsparse_diag_type_20rocsparse_direction_b,"axG",@progbits,_ZN9rocsparseL18bsrsv_upper_sharedILj128ELj64ELi32ELb0E21rocsparse_complex_numIdEEEviNS_24const_host_device_scalarIT3_EEPKiS7_PKS4_iS9_PS4_PiSB_SB_21rocsparse_index_base_20rocsparse_diag_type_20rocsparse_direction_b,comdat
	.globl	_ZN9rocsparseL18bsrsv_upper_sharedILj128ELj64ELi32ELb0E21rocsparse_complex_numIdEEEviNS_24const_host_device_scalarIT3_EEPKiS7_PKS4_iS9_PS4_PiSB_SB_21rocsparse_index_base_20rocsparse_diag_type_20rocsparse_direction_b ; -- Begin function _ZN9rocsparseL18bsrsv_upper_sharedILj128ELj64ELi32ELb0E21rocsparse_complex_numIdEEEviNS_24const_host_device_scalarIT3_EEPKiS7_PKS4_iS9_PS4_PiSB_SB_21rocsparse_index_base_20rocsparse_diag_type_20rocsparse_direction_b
	.p2align	8
	.type	_ZN9rocsparseL18bsrsv_upper_sharedILj128ELj64ELi32ELb0E21rocsparse_complex_numIdEEEviNS_24const_host_device_scalarIT3_EEPKiS7_PKS4_iS9_PS4_PiSB_SB_21rocsparse_index_base_20rocsparse_diag_type_20rocsparse_direction_b,@function
_ZN9rocsparseL18bsrsv_upper_sharedILj128ELj64ELi32ELb0E21rocsparse_complex_numIdEEEviNS_24const_host_device_scalarIT3_EEPKiS7_PKS4_iS9_PS4_PiSB_SB_21rocsparse_index_base_20rocsparse_diag_type_20rocsparse_direction_b: ; @_ZN9rocsparseL18bsrsv_upper_sharedILj128ELj64ELi32ELb0E21rocsparse_complex_numIdEEEviNS_24const_host_device_scalarIT3_EEPKiS7_PKS4_iS9_PS4_PiSB_SB_21rocsparse_index_base_20rocsparse_diag_type_20rocsparse_direction_b
; %bb.0:
	s_add_u32 flat_scratch_lo, s6, s9
	s_load_dwordx4 s[12:15], s[4:5], 0x60
	s_load_dwordx4 s[16:19], s[4:5], 0x8
	s_addc_u32 flat_scratch_hi, s7, 0
	s_add_u32 s0, s0, s9
	s_addc_u32 s1, s1, 0
	s_waitcnt lgkmcnt(0)
	s_bitcmp1_b32 s15, 0
	s_cselect_b64 s[10:11], -1, 0
	s_mov_b64 s[6:7], src_private_base
	v_mov_b32_e32 v1, s17
	s_and_b64 vcc, s[10:11], exec
	buffer_store_dword v1, off, s[0:3], 0 offset:4
	v_mov_b32_e32 v1, s16
	s_cselect_b32 s6, s7, s17
	s_cselect_b32 s7, 0, s16
	buffer_store_dword v1, off, s[0:3], 0
	v_mov_b32_e32 v1, s7
	v_mov_b32_e32 v2, s6
	flat_load_dwordx2 v[1:2], v[1:2]
	v_mov_b32_e32 v7, s18
	v_mov_b32_e32 v8, s19
	s_cbranch_vccnz .LBB83_2
; %bb.1:
	v_mov_b32_e32 v3, s16
	v_mov_b32_e32 v4, s17
	flat_load_dwordx2 v[7:8], v[3:4] offset:8
.LBB83_2:
	s_load_dword s9, s[4:5], 0x0
	s_lshl_b32 s6, s8, 1
	v_lshrrev_b32_e32 v15, 6, v0
	s_and_b32 s6, s6, 0x3fffffe
	v_or_b32_e32 v3, s6, v15
	s_waitcnt lgkmcnt(0)
	v_cmp_gt_i32_e32 vcc, s9, v3
	s_and_saveexec_b64 s[6:7], vcc
	s_cbranch_execz .LBB83_31
; %bb.3:
	s_load_dwordx2 s[6:7], s[4:5], 0x50
	s_load_dwordx4 s[16:19], s[4:5], 0x40
	v_lshlrev_b32_e32 v3, 2, v3
	v_and_b32_e32 v12, 63, v0
	v_mov_b32_e32 v5, 0
	s_waitcnt lgkmcnt(0)
	global_load_dword v9, v3, s[6:7]
	s_load_dwordx2 s[6:7], s[4:5], 0x18
	s_load_dword s33, s[4:5], 0x30
	v_mov_b32_e32 v6, 0
	s_waitcnt lgkmcnt(0)
	v_mov_b32_e32 v4, s7
	v_cmp_gt_i32_e64 s[10:11], s33, v12
	s_waitcnt vmcnt(0)
	v_ashrrev_i32_e32 v10, 31, v9
	v_lshlrev_b64 v[10:11], 2, v[9:10]
	v_add_co_u32_e32 v3, vcc, s6, v10
	v_addc_co_u32_e32 v4, vcc, v4, v11, vcc
	global_load_dwordx2 v[13:14], v[3:4], off
	v_mov_b32_e32 v3, 0
	v_mov_b32_e32 v4, 0
	s_and_saveexec_b64 s[6:7], s[10:11]
	s_cbranch_execz .LBB83_5
; %bb.4:
	s_waitcnt vmcnt(0)
	v_mad_u64_u32 v[3:4], s[20:21], v9, s33, v[12:13]
	s_load_dwordx2 s[20:21], s[4:5], 0x38
	v_ashrrev_i32_e32 v4, 31, v3
	v_lshlrev_b64 v[3:4], 4, v[3:4]
	s_waitcnt lgkmcnt(0)
	v_mov_b32_e32 v5, s21
	v_add_co_u32_e32 v3, vcc, s20, v3
	v_addc_co_u32_e32 v4, vcc, v5, v4, vcc
	global_load_dwordx4 v[3:6], v[3:4], off
.LBB83_5:
	s_or_b64 exec, exec, s[6:7]
	s_waitcnt vmcnt(0)
	v_mul_f64 v[16:17], v[5:6], -v[7:8]
	v_mul_f64 v[5:6], v[1:2], v[5:6]
	s_load_dwordx2 s[24:25], s[4:5], 0x58
	v_subrev_u32_e32 v18, s12, v13
	v_xad_u32 v13, s12, -1, v14
	v_cmp_ge_i32_e32 vcc, v13, v18
	v_mov_b32_e32 v14, s9
	v_fma_f64 v[1:2], v[1:2], v[3:4], v[16:17]
	v_fma_f64 v[3:4], v[7:8], v[3:4], v[5:6]
	v_lshlrev_b32_e32 v16, 14, v15
	v_lshlrev_b32_e32 v17, 4, v12
	s_and_saveexec_b64 s[26:27], vcc
	s_cbranch_execz .LBB83_28
; %bb.6:
	v_mov_b32_e32 v5, 0x8000
	v_and_b32_e32 v0, 31, v0
	s_load_dwordx4 s[20:23], s[4:5], 0x20
	v_lshl_or_b32 v19, v15, 9, v5
	v_mad_u64_u32 v[5:6], s[4:5], s33, v13, v[0:1]
	v_lshrrev_b32_e32 v20, 5, v12
	s_cmp_lg_u32 s14, 0
	v_mul_lo_u32 v23, s33, v5
	v_lshlrev_b32_e32 v5, 9, v20
	v_lshlrev_b32_e32 v6, 4, v0
	v_cmp_gt_i32_e64 s[6:7], s33, v0
	s_cselect_b64 s[14:15], -1, 0
	v_cmp_gt_u32_e64 s[8:9], 32, v12
	v_add_u32_e32 v21, v19, v17
	v_add_u32_e32 v22, v16, v17
	s_mul_i32 s38, s33, s33
	v_add3_u32 v24, v16, v5, v6
	s_mov_b64 s[28:29], 0
	s_waitcnt lgkmcnt(0)
	v_mov_b32_e32 v25, s21
	s_branch .LBB83_9
.LBB83_7:                               ;   in Loop: Header=BB83_9 Depth=1
	s_or_b64 exec, exec, s[4:5]
.LBB83_8:                               ;   in Loop: Header=BB83_9 Depth=1
	s_or_b64 exec, exec, s[30:31]
	v_cmp_le_i32_e64 s[4:5], v13, v18
	s_xor_b64 s[30:31], vcc, -1
	s_or_b64 s[4:5], s[30:31], s[4:5]
	v_add_u32_e32 v5, -1, v13
	s_and_b64 s[4:5], exec, s[4:5]
	v_subrev_u32_e32 v23, s38, v23
	s_or_b64 s[28:29], s[4:5], s[28:29]
	v_mov_b32_e32 v13, v5
	s_andn2_b64 exec, exec, s[28:29]
	s_cbranch_execz .LBB83_27
.LBB83_9:                               ; =>This Loop Header: Depth=1
                                        ;     Child Loop BB83_12 Depth 2
                                        ;     Child Loop BB83_20 Depth 2
	v_ashrrev_i32_e32 v14, 31, v13
	v_lshlrev_b64 v[5:6], 2, v[13:14]
	v_mul_lo_u32 v15, v13, s33
	v_add_co_u32_e32 v5, vcc, s20, v5
	v_addc_co_u32_e32 v6, vcc, v25, v6, vcc
	global_load_dword v14, v[5:6], off
	s_mov_b64 s[4:5], 0
	v_mov_b32_e32 v26, v24
	v_mov_b32_e32 v27, v20
	s_branch .LBB83_12
.LBB83_10:                              ;   in Loop: Header=BB83_12 Depth=2
	v_ashrrev_i32_e32 v6, 31, v5
	v_lshlrev_b64 v[5:6], 4, v[5:6]
	v_mov_b32_e32 v7, s23
	v_add_co_u32_e32 v5, vcc, s22, v5
	v_addc_co_u32_e32 v6, vcc, v7, v6, vcc
	global_load_dwordx4 v[5:8], v[5:6], off
.LBB83_11:                              ;   in Loop: Header=BB83_12 Depth=2
	s_or_b64 exec, exec, s[30:31]
	s_waitcnt vmcnt(0)
	ds_write_b128 v26, v[5:8]
	v_add_u32_e32 v5, 2, v27
	v_cmp_lt_u32_e32 vcc, 29, v27
	v_add_u32_e32 v26, 0x400, v26
	s_or_b64 s[4:5], vcc, s[4:5]
	v_mov_b32_e32 v27, v5
	s_andn2_b64 exec, exec, s[4:5]
	s_cbranch_execz .LBB83_17
.LBB83_12:                              ;   Parent Loop BB83_9 Depth=1
                                        ; =>  This Inner Loop Header: Depth=2
	v_cmp_gt_i32_e32 vcc, s33, v27
	v_mov_b32_e32 v5, 0
	v_mov_b32_e32 v7, 0
	;; [unrolled: 1-line block ×4, first 2 shown]
	s_and_b64 s[34:35], s[6:7], vcc
	s_and_saveexec_b64 s[30:31], s[34:35]
	s_cbranch_execz .LBB83_11
; %bb.13:                               ;   in Loop: Header=BB83_12 Depth=2
	s_and_b64 vcc, exec, s[14:15]
	s_cbranch_vccz .LBB83_15
; %bb.14:                               ;   in Loop: Header=BB83_12 Depth=2
	v_add_u32_e32 v5, v27, v15
	v_mad_u64_u32 v[5:6], s[34:35], v5, s33, v[0:1]
	s_cbranch_execnz .LBB83_10
	s_branch .LBB83_16
.LBB83_15:                              ;   in Loop: Header=BB83_12 Depth=2
                                        ; implicit-def: $vgpr5
.LBB83_16:                              ;   in Loop: Header=BB83_12 Depth=2
	v_add_u32_e32 v5, v23, v27
	s_branch .LBB83_10
.LBB83_17:                              ;   in Loop: Header=BB83_9 Depth=1
	s_or_b64 exec, exec, s[4:5]
	v_subrev_u32_e32 v14, s12, v14
	v_cmp_gt_i32_e32 vcc, v14, v9
	s_and_saveexec_b64 s[30:31], vcc
	s_cbranch_execz .LBB83_8
; %bb.18:                               ;   in Loop: Header=BB83_9 Depth=1
	v_ashrrev_i32_e32 v15, 31, v14
	v_lshlrev_b64 v[5:6], 2, v[14:15]
	v_mov_b32_e32 v7, s19
	v_add_co_u32_e64 v5, s[4:5], s18, v5
	v_addc_co_u32_e64 v6, s[4:5], v7, v6, s[4:5]
	global_load_dword v7, v[5:6], off glc
	s_waitcnt vmcnt(0)
	v_cmp_eq_u32_e64 s[4:5], 0, v7
	s_and_saveexec_b64 s[34:35], s[4:5]
	s_cbranch_execz .LBB83_21
; %bb.19:                               ;   in Loop: Header=BB83_9 Depth=1
	s_mov_b64 s[36:37], 0
.LBB83_20:                              ;   Parent Loop BB83_9 Depth=1
                                        ; =>  This Inner Loop Header: Depth=2
	global_load_dword v7, v[5:6], off glc
	s_waitcnt vmcnt(0)
	v_cmp_ne_u32_e64 s[4:5], 0, v7
	s_or_b64 s[36:37], s[4:5], s[36:37]
	s_andn2_b64 exec, exec, s[36:37]
	s_cbranch_execnz .LBB83_20
.LBB83_21:                              ;   in Loop: Header=BB83_9 Depth=1
	s_or_b64 exec, exec, s[34:35]
	s_waitcnt lgkmcnt(0)
	buffer_wbinvl1_vol
	s_and_saveexec_b64 s[34:35], s[8:9]
	s_cbranch_execz .LBB83_25
; %bb.22:                               ;   in Loop: Header=BB83_9 Depth=1
	v_mov_b32_e32 v7, 0
	v_mov_b32_e32 v5, 0
	;; [unrolled: 1-line block ×4, first 2 shown]
	s_and_saveexec_b64 s[36:37], s[10:11]
	s_cbranch_execz .LBB83_24
; %bb.23:                               ;   in Loop: Header=BB83_9 Depth=1
	v_mad_u64_u32 v[5:6], s[4:5], v14, s33, v[12:13]
	v_mov_b32_e32 v7, s17
	v_ashrrev_i32_e32 v6, 31, v5
	v_lshlrev_b64 v[5:6], 4, v[5:6]
	v_add_co_u32_e64 v5, s[4:5], s16, v5
	v_addc_co_u32_e64 v6, s[4:5], v7, v6, s[4:5]
	global_load_dwordx4 v[5:8], v[5:6], off
.LBB83_24:                              ;   in Loop: Header=BB83_9 Depth=1
	s_or_b64 exec, exec, s[36:37]
	s_waitcnt vmcnt(0)
	ds_write_b128 v21, v[5:8]
.LBB83_25:                              ;   in Loop: Header=BB83_9 Depth=1
	s_or_b64 exec, exec, s[34:35]
	s_waitcnt lgkmcnt(0)
	s_and_saveexec_b64 s[4:5], s[10:11]
	s_cbranch_execz .LBB83_7
; %bb.26:                               ;   in Loop: Header=BB83_9 Depth=1
	ds_read_b128 v[5:8], v22
	ds_read_b128 v[26:29], v19
	ds_read_b128 v[30:33], v19 offset:16
	ds_read_b128 v[34:37], v22 offset:512
	s_waitcnt lgkmcnt(2)
	v_fma_f64 v[1:2], -v[5:6], v[26:27], v[1:2]
	v_fma_f64 v[3:4], -v[7:8], v[26:27], v[3:4]
	v_fma_f64 v[1:2], v[7:8], v[28:29], v[1:2]
	v_fma_f64 v[3:4], -v[5:6], v[28:29], v[3:4]
	s_waitcnt lgkmcnt(0)
	v_fma_f64 v[1:2], -v[34:35], v[30:31], v[1:2]
	v_fma_f64 v[3:4], -v[36:37], v[30:31], v[3:4]
	v_fma_f64 v[36:37], v[36:37], v[32:33], v[1:2]
	v_fma_f64 v[34:35], -v[34:35], v[32:33], v[3:4]
	ds_read_b128 v[1:4], v22 offset:1024
	ds_read_b128 v[5:8], v19 offset:32
	ds_read_b128 v[26:29], v19 offset:48
	ds_read_b128 v[30:33], v22 offset:1536
	s_waitcnt lgkmcnt(2)
	v_fma_f64 v[36:37], -v[1:2], v[5:6], v[36:37]
	v_fma_f64 v[5:6], -v[3:4], v[5:6], v[34:35]
	v_fma_f64 v[3:4], v[3:4], v[7:8], v[36:37]
	v_fma_f64 v[1:2], -v[1:2], v[7:8], v[5:6]
	s_waitcnt lgkmcnt(0)
	v_fma_f64 v[3:4], -v[30:31], v[26:27], v[3:4]
	v_fma_f64 v[1:2], -v[32:33], v[26:27], v[1:2]
	v_fma_f64 v[34:35], v[32:33], v[28:29], v[3:4]
	v_fma_f64 v[36:37], -v[30:31], v[28:29], v[1:2]
	ds_read_b128 v[1:4], v19 offset:64
	ds_read_b128 v[5:8], v22 offset:2048
	;; [unrolled: 14-line block ×15, first 2 shown]
	ds_read_b128 v[26:29], v22 offset:15872
	ds_read_b128 v[30:33], v19 offset:496
	s_waitcnt lgkmcnt(2)
	v_fma_f64 v[34:35], -v[5:6], v[1:2], v[34:35]
	v_fma_f64 v[1:2], -v[7:8], v[1:2], v[36:37]
	v_fma_f64 v[7:8], v[7:8], v[3:4], v[34:35]
	v_fma_f64 v[1:2], -v[5:6], v[3:4], v[1:2]
	s_waitcnt lgkmcnt(0)
	v_fma_f64 v[3:4], -v[26:27], v[30:31], v[7:8]
	v_fma_f64 v[5:6], -v[28:29], v[30:31], v[1:2]
	v_fma_f64 v[1:2], v[28:29], v[32:33], v[3:4]
	v_fma_f64 v[3:4], -v[26:27], v[32:33], v[5:6]
	s_branch .LBB83_7
.LBB83_27:
	s_or_b64 exec, exec, s[28:29]
.LBB83_28:
	s_or_b64 exec, exec, s[26:27]
	s_cmp_gt_i32 s33, 0
	v_cmp_eq_u32_e32 vcc, v14, v9
	s_cselect_b64 s[4:5], -1, 0
	s_and_b64 s[6:7], s[4:5], vcc
	s_mov_b64 s[4:5], 0
	s_and_saveexec_b64 s[8:9], s[6:7]
	s_cbranch_execnz .LBB83_32
; %bb.29:
	s_or_b64 exec, exec, s[8:9]
	s_and_saveexec_b64 s[6:7], s[10:11]
	s_cbranch_execnz .LBB83_46
.LBB83_30:
	s_or_b64 exec, exec, s[6:7]
	v_cmp_eq_u32_e32 vcc, 0, v12
	s_and_b64 exec, exec, vcc
	s_cbranch_execnz .LBB83_47
.LBB83_31:
	s_endpgm
.LBB83_32:
	v_lshl_add_u32 v5, s33, 9, v16
	s_movk_i32 s6, 0xfe00
	s_cmp_eq_u32 s13, 0
	v_add3_u32 v17, v5, v17, s6
	s_mul_i32 s6, s33, 0x210
	s_cselect_b64 s[4:5], -1, 0
	v_mbcnt_lo_u32_b32 v0, -1, 0
	v_add_u32_e32 v5, s6, v16
	v_mbcnt_hi_u32_b32 v0, -1, v0
	v_add_u32_e32 v18, 0xfffffdf0, v5
	v_cndmask_b32_e64 v5, 0, 1, s[4:5]
	v_and_b32_e32 v0, 64, v0
	s_add_i32 s13, s33, -1
	s_mov_b64 s[20:21], 0
	v_cmp_ne_u32_e64 s[6:7], 1, v5
                                        ; implicit-def: $sgpr14_sgpr15
	s_and_b64 vcc, exec, s[6:7]
	s_cbranch_vccz .LBB83_34
.LBB83_33:
	v_mov_b32_e32 v5, 0
	v_mov_b32_e32 v7, 0
	;; [unrolled: 1-line block ×4, first 2 shown]
	s_branch .LBB83_35
.LBB83_34:
	ds_read_b128 v[5:8], v18
.LBB83_35:
	s_waitcnt lgkmcnt(0)
	v_cmp_neq_f64_e32 vcc, 0, v[5:6]
	v_cmp_neq_f64_e64 s[4:5], 0, v[7:8]
	v_and_or_b32 v13, s13, 63, v0
	v_lshlrev_b32_e32 v14, 2, v13
	ds_bpermute_b32 v15, v14, v1
	ds_bpermute_b32 v16, v14, v2
	;; [unrolled: 1-line block ×4, first 2 shown]
	s_or_b64 s[14:15], s[14:15], exec
	s_or_b64 s[22:23], vcc, s[4:5]
	s_and_saveexec_b64 s[4:5], s[22:23]
	s_cbranch_execz .LBB83_37
; %bb.36:
	v_mul_f64 v[19:20], v[7:8], v[7:8]
	s_andn2_b64 s[14:15], s[14:15], exec
	s_and_b64 s[20:21], s[20:21], exec
	s_or_b64 s[14:15], s[14:15], s[20:21]
	v_fma_f64 v[19:20], v[5:6], v[5:6], v[19:20]
	v_div_scale_f64 v[21:22], s[22:23], v[19:20], v[19:20], 1.0
	v_rcp_f64_e32 v[23:24], v[21:22]
	v_fma_f64 v[25:26], -v[21:22], v[23:24], 1.0
	v_fma_f64 v[23:24], v[23:24], v[25:26], v[23:24]
	v_div_scale_f64 v[25:26], vcc, 1.0, v[19:20], 1.0
	v_fma_f64 v[27:28], -v[21:22], v[23:24], 1.0
	v_fma_f64 v[23:24], v[23:24], v[27:28], v[23:24]
	v_mul_f64 v[27:28], v[25:26], v[23:24]
	v_fma_f64 v[21:22], -v[21:22], v[27:28], v[25:26]
	v_div_fmas_f64 v[21:22], v[21:22], v[23:24], v[27:28]
	s_waitcnt lgkmcnt(0)
	v_mul_f64 v[23:24], v[7:8], v[13:14]
	v_mul_f64 v[7:8], v[7:8], -v[15:16]
	v_fma_f64 v[15:16], v[15:16], v[5:6], v[23:24]
	v_fma_f64 v[5:6], v[13:14], v[5:6], v[7:8]
	v_div_fixup_f64 v[19:20], v[21:22], v[19:20], 1.0
	v_mul_f64 v[15:16], v[19:20], v[15:16]
	v_mul_f64 v[13:14], v[19:20], v[5:6]
.LBB83_37:
	s_or_b64 exec, exec, s[4:5]
	s_and_saveexec_b64 s[4:5], s[10:11]
	s_cbranch_execz .LBB83_43
; %bb.38:
	v_cmp_le_i32_e32 vcc, s13, v12
	s_and_saveexec_b64 s[20:21], vcc
	s_xor_b64 s[20:21], exec, s[20:21]
	s_cbranch_execz .LBB83_40
; %bb.39:
	v_cmp_eq_u32_e32 vcc, s13, v12
	s_waitcnt lgkmcnt(2)
	v_cndmask_b32_e32 v2, v2, v16, vcc
	v_cndmask_b32_e32 v1, v1, v15, vcc
	s_waitcnt lgkmcnt(0)
	v_cndmask_b32_e32 v4, v4, v14, vcc
	v_cndmask_b32_e32 v3, v3, v13, vcc
                                        ; implicit-def: $vgpr15_vgpr16
                                        ; implicit-def: $vgpr13_vgpr14
.LBB83_40:
	s_andn2_saveexec_b64 s[20:21], s[20:21]
	s_cbranch_execz .LBB83_42
; %bb.41:
	ds_read_b128 v[5:8], v17
	s_waitcnt lgkmcnt(0)
	v_fma_f64 v[1:2], -v[15:16], v[5:6], v[1:2]
	v_fma_f64 v[3:4], -v[13:14], v[5:6], v[3:4]
	v_fma_f64 v[1:2], v[13:14], v[7:8], v[1:2]
	v_fma_f64 v[3:4], -v[15:16], v[7:8], v[3:4]
.LBB83_42:
	s_or_b64 exec, exec, s[20:21]
.LBB83_43:
	s_or_b64 exec, exec, s[4:5]
	s_add_i32 s4, s13, -1
	s_add_i32 s5, s13, 1
	v_add_u32_e32 v17, 0xfffffe00, v17
	s_cmp_gt_u32 s5, 1
	v_add_u32_e32 v18, 0xfffffdf0, v18
	s_cbranch_scc0 .LBB83_45
; %bb.44:
	s_mov_b64 s[20:21], s[14:15]
	s_mov_b32 s13, s4
	s_and_b64 vcc, exec, s[6:7]
	s_cbranch_vccnz .LBB83_33
	s_branch .LBB83_34
.LBB83_45:
	s_and_b64 s[4:5], s[14:15], exec
	s_or_b64 exec, exec, s[8:9]
	s_and_saveexec_b64 s[6:7], s[10:11]
	s_cbranch_execz .LBB83_30
.LBB83_46:
	s_waitcnt lgkmcnt(0)
	v_mad_u64_u32 v[5:6], s[8:9], v9, s33, v[12:13]
	v_mov_b32_e32 v0, s17
	v_ashrrev_i32_e32 v6, 31, v5
	v_lshlrev_b64 v[5:6], 4, v[5:6]
	v_add_co_u32_e32 v5, vcc, s16, v5
	v_addc_co_u32_e32 v6, vcc, v0, v6, vcc
	global_store_dwordx4 v[5:6], v[1:4], off
	s_or_b64 exec, exec, s[6:7]
	v_cmp_eq_u32_e32 vcc, 0, v12
	s_and_b64 exec, exec, vcc
	s_cbranch_execz .LBB83_31
.LBB83_47:
	v_mov_b32_e32 v1, s19
	v_add_co_u32_e32 v0, vcc, s18, v10
	v_addc_co_u32_e32 v1, vcc, v1, v11, vcc
	v_mov_b32_e32 v2, 1
	s_waitcnt vmcnt(0) lgkmcnt(0)
	global_store_dword v[0:1], v2, off
	s_and_b64 exec, exec, s[4:5]
	s_cbranch_execz .LBB83_31
; %bb.48:
	s_mov_b64 s[4:5], exec
	v_add_u32_e32 v0, s12, v9
	s_brev_b32 s6, -2
.LBB83_49:                              ; =>This Inner Loop Header: Depth=1
	s_ff1_i32_b64 s7, s[4:5]
	v_readlane_b32 s10, v0, s7
	s_lshl_b64 s[8:9], 1, s7
	s_min_i32 s6, s6, s10
	s_andn2_b64 s[4:5], s[4:5], s[8:9]
	s_cmp_lg_u64 s[4:5], 0
	s_cbranch_scc1 .LBB83_49
; %bb.50:
	v_mbcnt_lo_u32_b32 v0, exec_lo, 0
	v_mbcnt_hi_u32_b32 v0, exec_hi, v0
	v_cmp_eq_u32_e32 vcc, 0, v0
	s_and_saveexec_b64 s[4:5], vcc
	s_xor_b64 s[4:5], exec, s[4:5]
	s_cbranch_execz .LBB83_31
; %bb.51:
	v_mov_b32_e32 v0, 0
	v_mov_b32_e32 v1, s6
	global_atomic_smin v0, v1, s[24:25]
	s_endpgm
	.section	.rodata,"a",@progbits
	.p2align	6, 0x0
	.amdhsa_kernel _ZN9rocsparseL18bsrsv_upper_sharedILj128ELj64ELi32ELb0E21rocsparse_complex_numIdEEEviNS_24const_host_device_scalarIT3_EEPKiS7_PKS4_iS9_PS4_PiSB_SB_21rocsparse_index_base_20rocsparse_diag_type_20rocsparse_direction_b
		.amdhsa_group_segment_fixed_size 33792
		.amdhsa_private_segment_fixed_size 16
		.amdhsa_kernarg_size 112
		.amdhsa_user_sgpr_count 8
		.amdhsa_user_sgpr_private_segment_buffer 1
		.amdhsa_user_sgpr_dispatch_ptr 0
		.amdhsa_user_sgpr_queue_ptr 0
		.amdhsa_user_sgpr_kernarg_segment_ptr 1
		.amdhsa_user_sgpr_dispatch_id 0
		.amdhsa_user_sgpr_flat_scratch_init 1
		.amdhsa_user_sgpr_private_segment_size 0
		.amdhsa_uses_dynamic_stack 0
		.amdhsa_system_sgpr_private_segment_wavefront_offset 1
		.amdhsa_system_sgpr_workgroup_id_x 1
		.amdhsa_system_sgpr_workgroup_id_y 0
		.amdhsa_system_sgpr_workgroup_id_z 0
		.amdhsa_system_sgpr_workgroup_info 0
		.amdhsa_system_vgpr_workitem_id 0
		.amdhsa_next_free_vgpr 129
		.amdhsa_next_free_sgpr 96
		.amdhsa_reserve_vcc 1
		.amdhsa_reserve_flat_scratch 1
		.amdhsa_float_round_mode_32 0
		.amdhsa_float_round_mode_16_64 0
		.amdhsa_float_denorm_mode_32 3
		.amdhsa_float_denorm_mode_16_64 3
		.amdhsa_dx10_clamp 1
		.amdhsa_ieee_mode 1
		.amdhsa_fp16_overflow 0
		.amdhsa_exception_fp_ieee_invalid_op 0
		.amdhsa_exception_fp_denorm_src 0
		.amdhsa_exception_fp_ieee_div_zero 0
		.amdhsa_exception_fp_ieee_overflow 0
		.amdhsa_exception_fp_ieee_underflow 0
		.amdhsa_exception_fp_ieee_inexact 0
		.amdhsa_exception_int_div_zero 0
	.end_amdhsa_kernel
	.section	.text._ZN9rocsparseL18bsrsv_upper_sharedILj128ELj64ELi32ELb0E21rocsparse_complex_numIdEEEviNS_24const_host_device_scalarIT3_EEPKiS7_PKS4_iS9_PS4_PiSB_SB_21rocsparse_index_base_20rocsparse_diag_type_20rocsparse_direction_b,"axG",@progbits,_ZN9rocsparseL18bsrsv_upper_sharedILj128ELj64ELi32ELb0E21rocsparse_complex_numIdEEEviNS_24const_host_device_scalarIT3_EEPKiS7_PKS4_iS9_PS4_PiSB_SB_21rocsparse_index_base_20rocsparse_diag_type_20rocsparse_direction_b,comdat
.Lfunc_end83:
	.size	_ZN9rocsparseL18bsrsv_upper_sharedILj128ELj64ELi32ELb0E21rocsparse_complex_numIdEEEviNS_24const_host_device_scalarIT3_EEPKiS7_PKS4_iS9_PS4_PiSB_SB_21rocsparse_index_base_20rocsparse_diag_type_20rocsparse_direction_b, .Lfunc_end83-_ZN9rocsparseL18bsrsv_upper_sharedILj128ELj64ELi32ELb0E21rocsparse_complex_numIdEEEviNS_24const_host_device_scalarIT3_EEPKiS7_PKS4_iS9_PS4_PiSB_SB_21rocsparse_index_base_20rocsparse_diag_type_20rocsparse_direction_b
                                        ; -- End function
	.set _ZN9rocsparseL18bsrsv_upper_sharedILj128ELj64ELi32ELb0E21rocsparse_complex_numIdEEEviNS_24const_host_device_scalarIT3_EEPKiS7_PKS4_iS9_PS4_PiSB_SB_21rocsparse_index_base_20rocsparse_diag_type_20rocsparse_direction_b.num_vgpr, 38
	.set _ZN9rocsparseL18bsrsv_upper_sharedILj128ELj64ELi32ELb0E21rocsparse_complex_numIdEEEviNS_24const_host_device_scalarIT3_EEPKiS7_PKS4_iS9_PS4_PiSB_SB_21rocsparse_index_base_20rocsparse_diag_type_20rocsparse_direction_b.num_agpr, 0
	.set _ZN9rocsparseL18bsrsv_upper_sharedILj128ELj64ELi32ELb0E21rocsparse_complex_numIdEEEviNS_24const_host_device_scalarIT3_EEPKiS7_PKS4_iS9_PS4_PiSB_SB_21rocsparse_index_base_20rocsparse_diag_type_20rocsparse_direction_b.numbered_sgpr, 39
	.set _ZN9rocsparseL18bsrsv_upper_sharedILj128ELj64ELi32ELb0E21rocsparse_complex_numIdEEEviNS_24const_host_device_scalarIT3_EEPKiS7_PKS4_iS9_PS4_PiSB_SB_21rocsparse_index_base_20rocsparse_diag_type_20rocsparse_direction_b.num_named_barrier, 0
	.set _ZN9rocsparseL18bsrsv_upper_sharedILj128ELj64ELi32ELb0E21rocsparse_complex_numIdEEEviNS_24const_host_device_scalarIT3_EEPKiS7_PKS4_iS9_PS4_PiSB_SB_21rocsparse_index_base_20rocsparse_diag_type_20rocsparse_direction_b.private_seg_size, 16
	.set _ZN9rocsparseL18bsrsv_upper_sharedILj128ELj64ELi32ELb0E21rocsparse_complex_numIdEEEviNS_24const_host_device_scalarIT3_EEPKiS7_PKS4_iS9_PS4_PiSB_SB_21rocsparse_index_base_20rocsparse_diag_type_20rocsparse_direction_b.uses_vcc, 1
	.set _ZN9rocsparseL18bsrsv_upper_sharedILj128ELj64ELi32ELb0E21rocsparse_complex_numIdEEEviNS_24const_host_device_scalarIT3_EEPKiS7_PKS4_iS9_PS4_PiSB_SB_21rocsparse_index_base_20rocsparse_diag_type_20rocsparse_direction_b.uses_flat_scratch, 1
	.set _ZN9rocsparseL18bsrsv_upper_sharedILj128ELj64ELi32ELb0E21rocsparse_complex_numIdEEEviNS_24const_host_device_scalarIT3_EEPKiS7_PKS4_iS9_PS4_PiSB_SB_21rocsparse_index_base_20rocsparse_diag_type_20rocsparse_direction_b.has_dyn_sized_stack, 0
	.set _ZN9rocsparseL18bsrsv_upper_sharedILj128ELj64ELi32ELb0E21rocsparse_complex_numIdEEEviNS_24const_host_device_scalarIT3_EEPKiS7_PKS4_iS9_PS4_PiSB_SB_21rocsparse_index_base_20rocsparse_diag_type_20rocsparse_direction_b.has_recursion, 0
	.set _ZN9rocsparseL18bsrsv_upper_sharedILj128ELj64ELi32ELb0E21rocsparse_complex_numIdEEEviNS_24const_host_device_scalarIT3_EEPKiS7_PKS4_iS9_PS4_PiSB_SB_21rocsparse_index_base_20rocsparse_diag_type_20rocsparse_direction_b.has_indirect_call, 0
	.section	.AMDGPU.csdata,"",@progbits
; Kernel info:
; codeLenInByte = 3532
; TotalNumSgprs: 45
; NumVgprs: 38
; ScratchSize: 16
; MemoryBound: 1
; FloatMode: 240
; IeeeMode: 1
; LDSByteSize: 33792 bytes/workgroup (compile time only)
; SGPRBlocks: 12
; VGPRBlocks: 32
; NumSGPRsForWavesPerEU: 102
; NumVGPRsForWavesPerEU: 129
; Occupancy: 1
; WaveLimiterHint : 1
; COMPUTE_PGM_RSRC2:SCRATCH_EN: 1
; COMPUTE_PGM_RSRC2:USER_SGPR: 8
; COMPUTE_PGM_RSRC2:TRAP_HANDLER: 0
; COMPUTE_PGM_RSRC2:TGID_X_EN: 1
; COMPUTE_PGM_RSRC2:TGID_Y_EN: 0
; COMPUTE_PGM_RSRC2:TGID_Z_EN: 0
; COMPUTE_PGM_RSRC2:TIDIG_COMP_CNT: 0
	.section	.text._ZN9rocsparseL19bsrsv_lower_generalILj128ELj64ELb1E21rocsparse_complex_numIdEEEviNS_24const_host_device_scalarIT2_EEPKiS7_PKS4_iS9_PS4_PiSB_SB_21rocsparse_index_base_20rocsparse_diag_type_20rocsparse_direction_b,"axG",@progbits,_ZN9rocsparseL19bsrsv_lower_generalILj128ELj64ELb1E21rocsparse_complex_numIdEEEviNS_24const_host_device_scalarIT2_EEPKiS7_PKS4_iS9_PS4_PiSB_SB_21rocsparse_index_base_20rocsparse_diag_type_20rocsparse_direction_b,comdat
	.globl	_ZN9rocsparseL19bsrsv_lower_generalILj128ELj64ELb1E21rocsparse_complex_numIdEEEviNS_24const_host_device_scalarIT2_EEPKiS7_PKS4_iS9_PS4_PiSB_SB_21rocsparse_index_base_20rocsparse_diag_type_20rocsparse_direction_b ; -- Begin function _ZN9rocsparseL19bsrsv_lower_generalILj128ELj64ELb1E21rocsparse_complex_numIdEEEviNS_24const_host_device_scalarIT2_EEPKiS7_PKS4_iS9_PS4_PiSB_SB_21rocsparse_index_base_20rocsparse_diag_type_20rocsparse_direction_b
	.p2align	8
	.type	_ZN9rocsparseL19bsrsv_lower_generalILj128ELj64ELb1E21rocsparse_complex_numIdEEEviNS_24const_host_device_scalarIT2_EEPKiS7_PKS4_iS9_PS4_PiSB_SB_21rocsparse_index_base_20rocsparse_diag_type_20rocsparse_direction_b,@function
_ZN9rocsparseL19bsrsv_lower_generalILj128ELj64ELb1E21rocsparse_complex_numIdEEEviNS_24const_host_device_scalarIT2_EEPKiS7_PKS4_iS9_PS4_PiSB_SB_21rocsparse_index_base_20rocsparse_diag_type_20rocsparse_direction_b: ; @_ZN9rocsparseL19bsrsv_lower_generalILj128ELj64ELb1E21rocsparse_complex_numIdEEEviNS_24const_host_device_scalarIT2_EEPKiS7_PKS4_iS9_PS4_PiSB_SB_21rocsparse_index_base_20rocsparse_diag_type_20rocsparse_direction_b
; %bb.0:
	s_add_u32 flat_scratch_lo, s6, s9
	s_load_dwordx4 s[16:19], s[4:5], 0x60
	s_load_dwordx4 s[12:15], s[4:5], 0x8
	s_addc_u32 flat_scratch_hi, s7, 0
	s_add_u32 s0, s0, s9
	s_addc_u32 s1, s1, 0
	s_waitcnt lgkmcnt(0)
	s_bitcmp1_b32 s19, 0
	s_cselect_b64 s[10:11], -1, 0
	s_mov_b64 s[6:7], src_private_base
	v_mov_b32_e32 v1, s13
	s_and_b64 vcc, s[10:11], exec
	buffer_store_dword v1, off, s[0:3], 0 offset:4
	v_mov_b32_e32 v1, s12
	s_cselect_b32 s6, s7, s13
	s_cselect_b32 s7, 0, s12
	buffer_store_dword v1, off, s[0:3], 0
	v_mov_b32_e32 v1, s7
	v_mov_b32_e32 v2, s6
	flat_load_dwordx2 v[1:2], v[1:2]
	v_mov_b32_e32 v3, s14
	v_mov_b32_e32 v4, s15
	s_cbranch_vccnz .LBB84_2
; %bb.1:
	v_mov_b32_e32 v3, s12
	v_mov_b32_e32 v4, s13
	flat_load_dwordx2 v[3:4], v[3:4] offset:8
.LBB84_2:
	s_load_dword s19, s[4:5], 0x0
	s_lshl_b32 s6, s8, 1
	v_lshrrev_b32_e32 v5, 6, v0
	s_and_b32 s6, s6, 0x3fffffe
	v_or_b32_e32 v5, s6, v5
	s_waitcnt lgkmcnt(0)
	v_cmp_gt_i32_e32 vcc, s19, v5
	s_and_saveexec_b64 s[6:7], vcc
	s_cbranch_execz .LBB84_46
; %bb.3:
	s_load_dwordx8 s[8:15], s[4:5], 0x40
	v_lshlrev_b32_e32 v5, 2, v5
	s_load_dword s33, s[4:5], 0x30
	v_and_b32_e32 v11, 63, v0
	s_waitcnt lgkmcnt(0)
	global_load_dword v8, v5, s[12:13]
	s_load_dwordx4 s[20:23], s[4:5], 0x18
	s_load_dwordx2 s[12:13], s[4:5], 0x28
	v_cmp_gt_i32_e64 s[6:7], s33, v11
	s_waitcnt lgkmcnt(0)
	v_mov_b32_e32 v6, s21
	s_waitcnt vmcnt(0)
	v_ashrrev_i32_e32 v9, 31, v8
	v_lshlrev_b64 v[9:10], 2, v[8:9]
	v_add_co_u32_e32 v5, vcc, s20, v9
	v_addc_co_u32_e32 v6, vcc, v6, v10, vcc
	global_load_dwordx2 v[5:6], v[5:6], off
	s_and_saveexec_b64 s[20:21], s[6:7]
	s_cbranch_execz .LBB84_6
; %bb.4:
	v_mad_u64_u32 v[12:13], s[24:25], v8, s33, v[11:12]
	s_load_dwordx2 s[4:5], s[4:5], 0x38
	v_ashrrev_i32_e32 v13, 31, v12
	v_lshlrev_b64 v[14:15], 4, v[12:13]
	s_waitcnt lgkmcnt(0)
	v_mov_b32_e32 v0, s5
	v_or_b32_e32 v7, 8, v14
	v_add_co_u32_e32 v12, vcc, s4, v7
	v_addc_co_u32_e32 v13, vcc, v0, v15, vcc
	v_mov_b32_e32 v0, s9
	v_add_co_u32_e32 v14, vcc, s8, v7
	v_addc_co_u32_e32 v15, vcc, v0, v15, vcc
	s_mov_b64 s[4:5], 0
	v_mov_b32_e32 v0, v11
.LBB84_5:                               ; =>This Inner Loop Header: Depth=1
	global_load_dwordx4 v[16:19], v[12:13], off offset:-8
	v_add_co_u32_e32 v12, vcc, 0x400, v12
	v_add_u32_e32 v0, 64, v0
	v_addc_co_u32_e32 v13, vcc, 0, v13, vcc
	v_cmp_le_i32_e32 vcc, s33, v0
	s_or_b64 s[4:5], vcc, s[4:5]
	s_waitcnt vmcnt(0)
	v_mul_f64 v[20:21], v[18:19], -v[3:4]
	v_mul_f64 v[22:23], v[1:2], v[18:19]
	v_fma_f64 v[18:19], v[1:2], v[16:17], v[20:21]
	v_fma_f64 v[20:21], v[3:4], v[16:17], v[22:23]
	global_store_dwordx4 v[14:15], v[18:21], off offset:-8
	v_add_co_u32_e32 v14, vcc, 0x400, v14
	v_addc_co_u32_e32 v15, vcc, 0, v15, vcc
	s_andn2_b64 exec, exec, s[4:5]
	s_cbranch_execnz .LBB84_5
.LBB84_6:
	s_or_b64 exec, exec, s[20:21]
	v_mul_lo_u32 v14, v8, s33
	s_waitcnt vmcnt(0)
	v_subrev_u32_e32 v0, s16, v5
	v_cmp_lt_i32_e32 vcc, v5, v6
	v_mov_b32_e32 v1, s19
	s_and_saveexec_b64 s[4:5], vcc
	s_cbranch_execz .LBB84_26
; %bb.7:
	v_mad_u64_u32 v[1:2], s[20:21], s33, v0, v[11:12]
	s_cmp_lg_u32 s18, 0
	v_subrev_u32_e32 v7, s16, v6
	v_mul_lo_u32 v15, s33, v1
	s_cselect_b64 s[20:21], -1, 0
	s_mul_i32 s19, s33, s33
	s_lshl_b32 s38, s33, 6
	s_mov_b64 s[24:25], 0
	v_mov_b32_e32 v16, s23
                                        ; implicit-def: $sgpr26_sgpr27
	s_branch .LBB84_10
.LBB84_8:                               ;   in Loop: Header=BB84_10 Depth=1
	s_or_b64 exec, exec, s[30:31]
	v_add_u32_e32 v0, 1, v0
	v_cmp_ge_i32_e32 vcc, v0, v7
	s_andn2_b64 s[26:27], s[26:27], exec
	s_and_b64 s[30:31], vcc, exec
	v_add_u32_e32 v15, s19, v15
	s_or_b64 s[26:27], s[26:27], s[30:31]
.LBB84_9:                               ;   in Loop: Header=BB84_10 Depth=1
	s_or_b64 exec, exec, s[28:29]
	s_and_b64 s[28:29], exec, s[26:27]
	s_or_b64 s[24:25], s[28:29], s[24:25]
	s_andn2_b64 exec, exec, s[24:25]
	s_cbranch_execz .LBB84_25
.LBB84_10:                              ; =>This Loop Header: Depth=1
                                        ;     Child Loop BB84_14 Depth 2
                                        ;       Child Loop BB84_15 Depth 3
                                        ;     Child Loop BB84_19 Depth 2
                                        ;       Child Loop BB84_21 Depth 3
	v_ashrrev_i32_e32 v1, 31, v0
	v_lshlrev_b64 v[1:2], 2, v[0:1]
	s_or_b64 s[26:27], s[26:27], exec
	v_add_co_u32_e32 v1, vcc, s22, v1
	v_addc_co_u32_e32 v2, vcc, v16, v2, vcc
	global_load_dword v1, v[1:2], off
	s_waitcnt vmcnt(0)
	v_subrev_u32_e32 v1, s16, v1
	v_cmp_lt_i32_e32 vcc, v1, v8
	s_and_saveexec_b64 s[28:29], vcc
	s_cbranch_execz .LBB84_9
; %bb.11:                               ;   in Loop: Header=BB84_10 Depth=1
	v_ashrrev_i32_e32 v2, 31, v1
	v_lshlrev_b64 v[2:3], 2, v[1:2]
	v_mov_b32_e32 v4, s11
	v_add_co_u32_e32 v2, vcc, s10, v2
	v_addc_co_u32_e32 v3, vcc, v4, v3, vcc
	global_load_dword v4, v[2:3], off glc
	s_waitcnt vmcnt(0)
	v_cmp_eq_u32_e32 vcc, 0, v4
	s_and_saveexec_b64 s[30:31], vcc
	s_cbranch_execz .LBB84_16
; %bb.12:                               ;   in Loop: Header=BB84_10 Depth=1
	s_mov_b32 s23, 0
	s_mov_b64 s[34:35], 0
	s_branch .LBB84_14
.LBB84_13:                              ;   in Loop: Header=BB84_14 Depth=2
	global_load_dword v4, v[2:3], off glc
	s_cmpk_lt_u32 s23, 0xf43
	s_cselect_b64 s[36:37], -1, 0
	s_cmp_lg_u64 s[36:37], 0
	s_addc_u32 s23, s23, 0
	s_waitcnt vmcnt(0)
	v_cmp_ne_u32_e32 vcc, 0, v4
	s_or_b64 s[34:35], vcc, s[34:35]
	s_andn2_b64 exec, exec, s[34:35]
	s_cbranch_execz .LBB84_16
.LBB84_14:                              ;   Parent Loop BB84_10 Depth=1
                                        ; =>  This Loop Header: Depth=2
                                        ;       Child Loop BB84_15 Depth 3
	s_cmp_eq_u32 s23, 0
	s_mov_b32 s36, s23
	s_cbranch_scc1 .LBB84_13
.LBB84_15:                              ;   Parent Loop BB84_10 Depth=1
                                        ;     Parent Loop BB84_14 Depth=2
                                        ; =>    This Inner Loop Header: Depth=3
	s_add_i32 s36, s36, -1
	s_cmp_eq_u32 s36, 0
	s_sleep 1
	s_cbranch_scc0 .LBB84_15
	s_branch .LBB84_13
.LBB84_16:                              ;   in Loop: Header=BB84_10 Depth=1
	s_or_b64 exec, exec, s[30:31]
	buffer_wbinvl1_vol
	s_and_saveexec_b64 s[30:31], s[6:7]
	s_cbranch_execz .LBB84_8
; %bb.17:                               ;   in Loop: Header=BB84_10 Depth=1
	v_mul_lo_u32 v17, v0, s33
	v_mul_lo_u32 v18, v1, s33
	s_mov_b64 s[34:35], 0
	v_mov_b32_e32 v19, v15
	v_mov_b32_e32 v2, v11
	s_branch .LBB84_19
.LBB84_18:                              ;   in Loop: Header=BB84_19 Depth=2
	v_add_u32_e32 v12, v2, v14
	v_ashrrev_i32_e32 v13, 31, v12
	v_lshlrev_b64 v[12:13], 4, v[12:13]
	v_mov_b32_e32 v20, s9
	v_add_co_u32_e32 v12, vcc, s8, v12
	v_addc_co_u32_e32 v13, vcc, v20, v13, vcc
	global_load_dwordx4 v[20:23], v[12:13], off
	v_add_u32_e32 v2, 64, v2
	v_cmp_le_i32_e32 vcc, s33, v2
	s_or_b64 s[34:35], vcc, s[34:35]
	v_add_u32_e32 v19, s38, v19
	s_waitcnt vmcnt(0)
	v_add_f64 v[20:21], v[20:21], -v[5:6]
	v_add_f64 v[22:23], v[22:23], -v[3:4]
	global_store_dwordx4 v[12:13], v[20:23], off
	s_andn2_b64 exec, exec, s[34:35]
	s_cbranch_execz .LBB84_8
.LBB84_19:                              ;   Parent Loop BB84_10 Depth=1
                                        ; =>  This Loop Header: Depth=2
                                        ;       Child Loop BB84_21 Depth 3
	v_mov_b32_e32 v3, 0
	v_mov_b32_e32 v5, 0
	;; [unrolled: 1-line block ×4, first 2 shown]
	s_mov_b32 s23, 0
	s_branch .LBB84_21
.LBB84_20:                              ;   in Loop: Header=BB84_21 Depth=3
	v_ashrrev_i32_e32 v13, 31, v12
	v_lshlrev_b64 v[12:13], 4, v[12:13]
	v_mov_b32_e32 v20, s13
	v_add_co_u32_e32 v12, vcc, s12, v12
	v_addc_co_u32_e32 v13, vcc, v20, v13, vcc
	global_load_dwordx4 v[20:23], v[12:13], off
	v_add_u32_e32 v12, s23, v18
	v_ashrrev_i32_e32 v13, 31, v12
	v_lshlrev_b64 v[12:13], 4, v[12:13]
	v_mov_b32_e32 v24, s9
	v_add_co_u32_e32 v12, vcc, s8, v12
	v_addc_co_u32_e32 v13, vcc, v24, v13, vcc
	global_load_dwordx4 v[24:27], v[12:13], off
	s_add_i32 s23, s23, 1
	s_cmp_eq_u32 s33, s23
	s_waitcnt vmcnt(0)
	v_fma_f64 v[5:6], v[20:21], v[24:25], v[5:6]
	v_fma_f64 v[3:4], v[22:23], v[24:25], v[3:4]
	v_fma_f64 v[5:6], -v[22:23], v[26:27], v[5:6]
	v_fma_f64 v[3:4], v[20:21], v[26:27], v[3:4]
	s_cbranch_scc1 .LBB84_18
.LBB84_21:                              ;   Parent Loop BB84_10 Depth=1
                                        ;     Parent Loop BB84_19 Depth=2
                                        ; =>    This Inner Loop Header: Depth=3
	s_and_b64 vcc, exec, s[20:21]
	s_cbranch_vccz .LBB84_23
; %bb.22:                               ;   in Loop: Header=BB84_21 Depth=3
	v_add_u32_e32 v12, s23, v17
	v_mad_u64_u32 v[12:13], s[36:37], v12, s33, v[2:3]
	s_cbranch_execnz .LBB84_20
	s_branch .LBB84_24
.LBB84_23:                              ;   in Loop: Header=BB84_21 Depth=3
                                        ; implicit-def: $vgpr12
.LBB84_24:                              ;   in Loop: Header=BB84_21 Depth=3
	v_add_u32_e32 v12, s23, v19
	s_branch .LBB84_20
.LBB84_25:
	s_or_b64 exec, exec, s[24:25]
.LBB84_26:
	s_or_b64 exec, exec, s[4:5]
	s_cmp_gt_i32 s33, 0
	v_cmp_eq_u32_e32 vcc, v1, v8
	s_cselect_b64 s[4:5], -1, 0
	s_mov_b32 s26, 0
	s_and_b64 s[6:7], s[4:5], vcc
	s_mov_b64 s[4:5], 0
	s_and_saveexec_b64 s[20:21], s[6:7]
	s_cbranch_execz .LBB84_40
; %bb.27:
	v_mul_lo_u32 v15, v0, s33
	s_cmp_eq_u32 s17, 0
	s_cselect_b64 s[4:5], -1, 0
	s_cmp_lg_u32 s18, 0
	v_add_u32_e32 v0, v15, v11
	v_mul_lo_u32 v0, s33, v0
	v_add_u32_e32 v16, 1, v11
	s_cselect_b64 s[18:19], -1, 0
	s_add_i32 s17, s33, 1
	v_add_u32_e32 v17, s33, v0
	v_cndmask_b32_e64 v0, 0, 1, s[4:5]
	s_lshl_b32 s27, s33, 6
	s_mov_b64 s[24:25], 0
	v_cmp_ne_u32_e64 s[4:5], 1, v0
	v_mov_b32_e32 v18, s9
                                        ; implicit-def: $sgpr22_sgpr23
	s_and_b64 vcc, exec, s[4:5]
	s_cbranch_vccz .LBB84_29
.LBB84_28:
	v_mov_b32_e32 v6, 0
	v_mov_b32_e32 v4, 0
	;; [unrolled: 1-line block ×4, first 2 shown]
	s_branch .LBB84_30
.LBB84_29:
	s_waitcnt vmcnt(0)
	v_add_u32_e32 v0, s26, v15
	v_mul_lo_u32 v0, v0, s33
	v_mov_b32_e32 v2, s13
	v_add_u32_e32 v0, s26, v0
	v_ashrrev_i32_e32 v1, 31, v0
	v_lshlrev_b64 v[0:1], 4, v[0:1]
	v_add_co_u32_e32 v0, vcc, s12, v0
	v_addc_co_u32_e32 v1, vcc, v2, v1, vcc
	global_load_dwordx4 v[4:7], v[0:1], off
.LBB84_30:
	s_waitcnt vmcnt(0)
	v_add_u32_e32 v0, s26, v14
	v_ashrrev_i32_e32 v1, 31, v0
	v_lshlrev_b64 v[0:1], 4, v[0:1]
	s_waitcnt vmcnt(0)
	v_cmp_neq_f64_e64 s[6:7], 0, v[6:7]
	v_add_co_u32_e32 v12, vcc, s8, v0
	v_addc_co_u32_e32 v13, vcc, v18, v1, vcc
	global_load_dwordx4 v[0:3], v[12:13], off
	v_cmp_neq_f64_e32 vcc, 0, v[4:5]
	s_or_b64 s[22:23], s[22:23], exec
	s_or_b64 s[28:29], vcc, s[6:7]
	s_and_saveexec_b64 s[6:7], s[28:29]
	s_cbranch_execz .LBB84_32
; %bb.31:
	v_mul_f64 v[19:20], v[6:7], v[6:7]
	s_andn2_b64 s[22:23], s[22:23], exec
	s_and_b64 s[24:25], s[24:25], exec
	s_or_b64 s[22:23], s[22:23], s[24:25]
	v_fma_f64 v[19:20], v[4:5], v[4:5], v[19:20]
	v_div_scale_f64 v[21:22], s[28:29], v[19:20], v[19:20], 1.0
	v_rcp_f64_e32 v[23:24], v[21:22]
	v_fma_f64 v[25:26], -v[21:22], v[23:24], 1.0
	v_fma_f64 v[23:24], v[23:24], v[25:26], v[23:24]
	v_div_scale_f64 v[25:26], vcc, 1.0, v[19:20], 1.0
	v_fma_f64 v[27:28], -v[21:22], v[23:24], 1.0
	v_fma_f64 v[23:24], v[23:24], v[27:28], v[23:24]
	v_mul_f64 v[27:28], v[25:26], v[23:24]
	v_fma_f64 v[21:22], -v[21:22], v[27:28], v[25:26]
	v_div_fmas_f64 v[21:22], v[21:22], v[23:24], v[27:28]
	s_waitcnt vmcnt(0)
	v_mul_f64 v[23:24], v[6:7], v[2:3]
	v_mul_f64 v[6:7], v[6:7], -v[0:1]
	v_fma_f64 v[0:1], v[0:1], v[4:5], v[23:24]
	v_fma_f64 v[2:3], v[2:3], v[4:5], v[6:7]
	v_div_fixup_f64 v[19:20], v[21:22], v[19:20], 1.0
	v_mul_f64 v[0:1], v[19:20], v[0:1]
	v_mul_f64 v[2:3], v[19:20], v[2:3]
	global_store_dwordx4 v[12:13], v[0:3], off
.LBB84_32:
	s_or_b64 exec, exec, s[6:7]
	v_add_u32_e32 v6, s26, v16
	v_cmp_gt_i32_e32 vcc, s33, v6
	s_and_saveexec_b64 s[6:7], vcc
	s_cbranch_execz .LBB84_37
; %bb.33:
	v_add_u32_e32 v4, s26, v15
	v_mul_lo_u32 v7, v4, s33
	s_mov_b64 s[24:25], 0
	v_mov_b32_e32 v12, v17
	s_branch .LBB84_35
.LBB84_34:                              ;   in Loop: Header=BB84_35 Depth=1
	v_ashrrev_i32_e32 v5, 31, v4
	v_lshlrev_b64 v[4:5], 4, v[4:5]
	v_mov_b32_e32 v13, s13
	v_add_co_u32_e32 v4, vcc, s12, v4
	v_addc_co_u32_e32 v5, vcc, v13, v5, vcc
	global_load_dwordx4 v[19:22], v[4:5], off
	v_add_u32_e32 v4, v14, v6
	v_ashrrev_i32_e32 v5, 31, v4
	v_lshlrev_b64 v[4:5], 4, v[4:5]
	v_mov_b32_e32 v13, s9
	v_add_co_u32_e32 v4, vcc, s8, v4
	v_addc_co_u32_e32 v5, vcc, v13, v5, vcc
	global_load_dwordx4 v[23:26], v[4:5], off
	v_add_u32_e32 v6, 64, v6
	v_cmp_le_i32_e32 vcc, s33, v6
	s_or_b64 s[24:25], vcc, s[24:25]
	v_add_u32_e32 v12, s27, v12
	s_waitcnt vmcnt(1)
	v_mul_f64 v[27:28], v[21:22], -v[2:3]
	v_mul_f64 v[21:22], v[0:1], v[21:22]
	v_fma_f64 v[27:28], v[0:1], v[19:20], v[27:28]
	v_fma_f64 v[21:22], v[2:3], v[19:20], v[21:22]
	s_waitcnt vmcnt(0)
	v_add_f64 v[19:20], v[23:24], -v[27:28]
	v_add_f64 v[21:22], v[25:26], -v[21:22]
	global_store_dwordx4 v[4:5], v[19:22], off
	s_andn2_b64 exec, exec, s[24:25]
	s_cbranch_execz .LBB84_37
.LBB84_35:                              ; =>This Inner Loop Header: Depth=1
	s_andn2_b64 vcc, exec, s[18:19]
	v_mov_b32_e32 v4, v12
	s_cbranch_vccnz .LBB84_34
; %bb.36:                               ;   in Loop: Header=BB84_35 Depth=1
	v_add_u32_e32 v4, v6, v7
	s_branch .LBB84_34
.LBB84_37:
	s_or_b64 exec, exec, s[6:7]
	s_add_i32 s26, s26, 1
	s_cmp_eq_u32 s26, s33
	v_add_u32_e32 v17, s17, v17
	s_cbranch_scc1 .LBB84_39
; %bb.38:
	s_mov_b64 s[24:25], s[22:23]
	s_and_b64 vcc, exec, s[4:5]
	s_cbranch_vccnz .LBB84_28
	s_branch .LBB84_29
.LBB84_39:
	s_and_b64 s[4:5], s[22:23], exec
.LBB84_40:
	s_or_b64 exec, exec, s[20:21]
	v_cmp_eq_u32_e32 vcc, 0, v11
	s_and_b64 exec, exec, vcc
	s_cbranch_execz .LBB84_46
; %bb.41:
	s_waitcnt vmcnt(0)
	v_mov_b32_e32 v1, s11
	v_add_co_u32_e32 v0, vcc, s10, v9
	v_addc_co_u32_e32 v1, vcc, v1, v10, vcc
	v_mov_b32_e32 v2, 1
	global_store_dword v[0:1], v2, off
	s_and_b64 exec, exec, s[4:5]
	s_cbranch_execz .LBB84_46
; %bb.42:
	s_mov_b64 s[4:5], exec
	v_add_u32_e32 v0, s16, v8
	s_brev_b32 s6, -2
.LBB84_43:                              ; =>This Inner Loop Header: Depth=1
	s_ff1_i32_b64 s7, s[4:5]
	v_readlane_b32 s10, v0, s7
	s_lshl_b64 s[8:9], 1, s7
	s_min_i32 s6, s6, s10
	s_andn2_b64 s[4:5], s[4:5], s[8:9]
	s_cmp_lg_u64 s[4:5], 0
	s_cbranch_scc1 .LBB84_43
; %bb.44:
	v_mbcnt_lo_u32_b32 v0, exec_lo, 0
	v_mbcnt_hi_u32_b32 v0, exec_hi, v0
	v_cmp_eq_u32_e32 vcc, 0, v0
	s_and_saveexec_b64 s[4:5], vcc
	s_xor_b64 s[4:5], exec, s[4:5]
	s_cbranch_execz .LBB84_46
; %bb.45:
	v_mov_b32_e32 v0, 0
	v_mov_b32_e32 v1, s6
	global_atomic_smin v0, v1, s[14:15]
.LBB84_46:
	s_endpgm
	.section	.rodata,"a",@progbits
	.p2align	6, 0x0
	.amdhsa_kernel _ZN9rocsparseL19bsrsv_lower_generalILj128ELj64ELb1E21rocsparse_complex_numIdEEEviNS_24const_host_device_scalarIT2_EEPKiS7_PKS4_iS9_PS4_PiSB_SB_21rocsparse_index_base_20rocsparse_diag_type_20rocsparse_direction_b
		.amdhsa_group_segment_fixed_size 0
		.amdhsa_private_segment_fixed_size 16
		.amdhsa_kernarg_size 112
		.amdhsa_user_sgpr_count 8
		.amdhsa_user_sgpr_private_segment_buffer 1
		.amdhsa_user_sgpr_dispatch_ptr 0
		.amdhsa_user_sgpr_queue_ptr 0
		.amdhsa_user_sgpr_kernarg_segment_ptr 1
		.amdhsa_user_sgpr_dispatch_id 0
		.amdhsa_user_sgpr_flat_scratch_init 1
		.amdhsa_user_sgpr_private_segment_size 0
		.amdhsa_uses_dynamic_stack 0
		.amdhsa_system_sgpr_private_segment_wavefront_offset 1
		.amdhsa_system_sgpr_workgroup_id_x 1
		.amdhsa_system_sgpr_workgroup_id_y 0
		.amdhsa_system_sgpr_workgroup_id_z 0
		.amdhsa_system_sgpr_workgroup_info 0
		.amdhsa_system_vgpr_workitem_id 0
		.amdhsa_next_free_vgpr 29
		.amdhsa_next_free_sgpr 39
		.amdhsa_reserve_vcc 1
		.amdhsa_reserve_flat_scratch 1
		.amdhsa_float_round_mode_32 0
		.amdhsa_float_round_mode_16_64 0
		.amdhsa_float_denorm_mode_32 3
		.amdhsa_float_denorm_mode_16_64 3
		.amdhsa_dx10_clamp 1
		.amdhsa_ieee_mode 1
		.amdhsa_fp16_overflow 0
		.amdhsa_exception_fp_ieee_invalid_op 0
		.amdhsa_exception_fp_denorm_src 0
		.amdhsa_exception_fp_ieee_div_zero 0
		.amdhsa_exception_fp_ieee_overflow 0
		.amdhsa_exception_fp_ieee_underflow 0
		.amdhsa_exception_fp_ieee_inexact 0
		.amdhsa_exception_int_div_zero 0
	.end_amdhsa_kernel
	.section	.text._ZN9rocsparseL19bsrsv_lower_generalILj128ELj64ELb1E21rocsparse_complex_numIdEEEviNS_24const_host_device_scalarIT2_EEPKiS7_PKS4_iS9_PS4_PiSB_SB_21rocsparse_index_base_20rocsparse_diag_type_20rocsparse_direction_b,"axG",@progbits,_ZN9rocsparseL19bsrsv_lower_generalILj128ELj64ELb1E21rocsparse_complex_numIdEEEviNS_24const_host_device_scalarIT2_EEPKiS7_PKS4_iS9_PS4_PiSB_SB_21rocsparse_index_base_20rocsparse_diag_type_20rocsparse_direction_b,comdat
.Lfunc_end84:
	.size	_ZN9rocsparseL19bsrsv_lower_generalILj128ELj64ELb1E21rocsparse_complex_numIdEEEviNS_24const_host_device_scalarIT2_EEPKiS7_PKS4_iS9_PS4_PiSB_SB_21rocsparse_index_base_20rocsparse_diag_type_20rocsparse_direction_b, .Lfunc_end84-_ZN9rocsparseL19bsrsv_lower_generalILj128ELj64ELb1E21rocsparse_complex_numIdEEEviNS_24const_host_device_scalarIT2_EEPKiS7_PKS4_iS9_PS4_PiSB_SB_21rocsparse_index_base_20rocsparse_diag_type_20rocsparse_direction_b
                                        ; -- End function
	.set _ZN9rocsparseL19bsrsv_lower_generalILj128ELj64ELb1E21rocsparse_complex_numIdEEEviNS_24const_host_device_scalarIT2_EEPKiS7_PKS4_iS9_PS4_PiSB_SB_21rocsparse_index_base_20rocsparse_diag_type_20rocsparse_direction_b.num_vgpr, 29
	.set _ZN9rocsparseL19bsrsv_lower_generalILj128ELj64ELb1E21rocsparse_complex_numIdEEEviNS_24const_host_device_scalarIT2_EEPKiS7_PKS4_iS9_PS4_PiSB_SB_21rocsparse_index_base_20rocsparse_diag_type_20rocsparse_direction_b.num_agpr, 0
	.set _ZN9rocsparseL19bsrsv_lower_generalILj128ELj64ELb1E21rocsparse_complex_numIdEEEviNS_24const_host_device_scalarIT2_EEPKiS7_PKS4_iS9_PS4_PiSB_SB_21rocsparse_index_base_20rocsparse_diag_type_20rocsparse_direction_b.numbered_sgpr, 39
	.set _ZN9rocsparseL19bsrsv_lower_generalILj128ELj64ELb1E21rocsparse_complex_numIdEEEviNS_24const_host_device_scalarIT2_EEPKiS7_PKS4_iS9_PS4_PiSB_SB_21rocsparse_index_base_20rocsparse_diag_type_20rocsparse_direction_b.num_named_barrier, 0
	.set _ZN9rocsparseL19bsrsv_lower_generalILj128ELj64ELb1E21rocsparse_complex_numIdEEEviNS_24const_host_device_scalarIT2_EEPKiS7_PKS4_iS9_PS4_PiSB_SB_21rocsparse_index_base_20rocsparse_diag_type_20rocsparse_direction_b.private_seg_size, 16
	.set _ZN9rocsparseL19bsrsv_lower_generalILj128ELj64ELb1E21rocsparse_complex_numIdEEEviNS_24const_host_device_scalarIT2_EEPKiS7_PKS4_iS9_PS4_PiSB_SB_21rocsparse_index_base_20rocsparse_diag_type_20rocsparse_direction_b.uses_vcc, 1
	.set _ZN9rocsparseL19bsrsv_lower_generalILj128ELj64ELb1E21rocsparse_complex_numIdEEEviNS_24const_host_device_scalarIT2_EEPKiS7_PKS4_iS9_PS4_PiSB_SB_21rocsparse_index_base_20rocsparse_diag_type_20rocsparse_direction_b.uses_flat_scratch, 1
	.set _ZN9rocsparseL19bsrsv_lower_generalILj128ELj64ELb1E21rocsparse_complex_numIdEEEviNS_24const_host_device_scalarIT2_EEPKiS7_PKS4_iS9_PS4_PiSB_SB_21rocsparse_index_base_20rocsparse_diag_type_20rocsparse_direction_b.has_dyn_sized_stack, 0
	.set _ZN9rocsparseL19bsrsv_lower_generalILj128ELj64ELb1E21rocsparse_complex_numIdEEEviNS_24const_host_device_scalarIT2_EEPKiS7_PKS4_iS9_PS4_PiSB_SB_21rocsparse_index_base_20rocsparse_diag_type_20rocsparse_direction_b.has_recursion, 0
	.set _ZN9rocsparseL19bsrsv_lower_generalILj128ELj64ELb1E21rocsparse_complex_numIdEEEviNS_24const_host_device_scalarIT2_EEPKiS7_PKS4_iS9_PS4_PiSB_SB_21rocsparse_index_base_20rocsparse_diag_type_20rocsparse_direction_b.has_indirect_call, 0
	.section	.AMDGPU.csdata,"",@progbits
; Kernel info:
; codeLenInByte = 1928
; TotalNumSgprs: 45
; NumVgprs: 29
; ScratchSize: 16
; MemoryBound: 0
; FloatMode: 240
; IeeeMode: 1
; LDSByteSize: 0 bytes/workgroup (compile time only)
; SGPRBlocks: 5
; VGPRBlocks: 7
; NumSGPRsForWavesPerEU: 45
; NumVGPRsForWavesPerEU: 29
; Occupancy: 8
; WaveLimiterHint : 1
; COMPUTE_PGM_RSRC2:SCRATCH_EN: 1
; COMPUTE_PGM_RSRC2:USER_SGPR: 8
; COMPUTE_PGM_RSRC2:TRAP_HANDLER: 0
; COMPUTE_PGM_RSRC2:TGID_X_EN: 1
; COMPUTE_PGM_RSRC2:TGID_Y_EN: 0
; COMPUTE_PGM_RSRC2:TGID_Z_EN: 0
; COMPUTE_PGM_RSRC2:TIDIG_COMP_CNT: 0
	.section	.text._ZN9rocsparseL19bsrsv_lower_generalILj128ELj64ELb0E21rocsparse_complex_numIdEEEviNS_24const_host_device_scalarIT2_EEPKiS7_PKS4_iS9_PS4_PiSB_SB_21rocsparse_index_base_20rocsparse_diag_type_20rocsparse_direction_b,"axG",@progbits,_ZN9rocsparseL19bsrsv_lower_generalILj128ELj64ELb0E21rocsparse_complex_numIdEEEviNS_24const_host_device_scalarIT2_EEPKiS7_PKS4_iS9_PS4_PiSB_SB_21rocsparse_index_base_20rocsparse_diag_type_20rocsparse_direction_b,comdat
	.globl	_ZN9rocsparseL19bsrsv_lower_generalILj128ELj64ELb0E21rocsparse_complex_numIdEEEviNS_24const_host_device_scalarIT2_EEPKiS7_PKS4_iS9_PS4_PiSB_SB_21rocsparse_index_base_20rocsparse_diag_type_20rocsparse_direction_b ; -- Begin function _ZN9rocsparseL19bsrsv_lower_generalILj128ELj64ELb0E21rocsparse_complex_numIdEEEviNS_24const_host_device_scalarIT2_EEPKiS7_PKS4_iS9_PS4_PiSB_SB_21rocsparse_index_base_20rocsparse_diag_type_20rocsparse_direction_b
	.p2align	8
	.type	_ZN9rocsparseL19bsrsv_lower_generalILj128ELj64ELb0E21rocsparse_complex_numIdEEEviNS_24const_host_device_scalarIT2_EEPKiS7_PKS4_iS9_PS4_PiSB_SB_21rocsparse_index_base_20rocsparse_diag_type_20rocsparse_direction_b,@function
_ZN9rocsparseL19bsrsv_lower_generalILj128ELj64ELb0E21rocsparse_complex_numIdEEEviNS_24const_host_device_scalarIT2_EEPKiS7_PKS4_iS9_PS4_PiSB_SB_21rocsparse_index_base_20rocsparse_diag_type_20rocsparse_direction_b: ; @_ZN9rocsparseL19bsrsv_lower_generalILj128ELj64ELb0E21rocsparse_complex_numIdEEEviNS_24const_host_device_scalarIT2_EEPKiS7_PKS4_iS9_PS4_PiSB_SB_21rocsparse_index_base_20rocsparse_diag_type_20rocsparse_direction_b
; %bb.0:
	s_add_u32 flat_scratch_lo, s6, s9
	s_load_dwordx4 s[16:19], s[4:5], 0x60
	s_load_dwordx4 s[12:15], s[4:5], 0x8
	s_addc_u32 flat_scratch_hi, s7, 0
	s_add_u32 s0, s0, s9
	s_addc_u32 s1, s1, 0
	s_waitcnt lgkmcnt(0)
	s_bitcmp1_b32 s19, 0
	s_cselect_b64 s[10:11], -1, 0
	s_mov_b64 s[6:7], src_private_base
	v_mov_b32_e32 v1, s13
	s_and_b64 vcc, s[10:11], exec
	buffer_store_dword v1, off, s[0:3], 0 offset:4
	v_mov_b32_e32 v1, s12
	s_cselect_b32 s6, s7, s13
	s_cselect_b32 s7, 0, s12
	buffer_store_dword v1, off, s[0:3], 0
	v_mov_b32_e32 v1, s7
	v_mov_b32_e32 v2, s6
	flat_load_dwordx2 v[1:2], v[1:2]
	v_mov_b32_e32 v3, s14
	v_mov_b32_e32 v4, s15
	s_cbranch_vccnz .LBB85_2
; %bb.1:
	v_mov_b32_e32 v3, s12
	v_mov_b32_e32 v4, s13
	flat_load_dwordx2 v[3:4], v[3:4] offset:8
.LBB85_2:
	s_load_dword s19, s[4:5], 0x0
	s_lshl_b32 s6, s8, 1
	v_lshrrev_b32_e32 v5, 6, v0
	s_and_b32 s6, s6, 0x3fffffe
	v_or_b32_e32 v5, s6, v5
	s_waitcnt lgkmcnt(0)
	v_cmp_gt_i32_e32 vcc, s19, v5
	s_and_saveexec_b64 s[6:7], vcc
	s_cbranch_execz .LBB85_44
; %bb.3:
	s_load_dwordx8 s[8:15], s[4:5], 0x40
	v_lshlrev_b32_e32 v5, 2, v5
	s_load_dword s33, s[4:5], 0x30
	v_and_b32_e32 v11, 63, v0
	s_waitcnt lgkmcnt(0)
	global_load_dword v8, v5, s[12:13]
	s_load_dwordx4 s[20:23], s[4:5], 0x18
	s_load_dwordx2 s[12:13], s[4:5], 0x28
	v_cmp_gt_i32_e64 s[6:7], s33, v11
	s_waitcnt lgkmcnt(0)
	v_mov_b32_e32 v6, s21
	s_waitcnt vmcnt(0)
	v_ashrrev_i32_e32 v9, 31, v8
	v_lshlrev_b64 v[9:10], 2, v[8:9]
	v_add_co_u32_e32 v5, vcc, s20, v9
	v_addc_co_u32_e32 v6, vcc, v6, v10, vcc
	global_load_dwordx2 v[5:6], v[5:6], off
	s_and_saveexec_b64 s[20:21], s[6:7]
	s_cbranch_execz .LBB85_6
; %bb.4:
	v_mad_u64_u32 v[12:13], s[24:25], v8, s33, v[11:12]
	s_load_dwordx2 s[4:5], s[4:5], 0x38
	v_ashrrev_i32_e32 v13, 31, v12
	v_lshlrev_b64 v[14:15], 4, v[12:13]
	s_waitcnt lgkmcnt(0)
	v_mov_b32_e32 v0, s5
	v_or_b32_e32 v7, 8, v14
	v_add_co_u32_e32 v12, vcc, s4, v7
	v_addc_co_u32_e32 v13, vcc, v0, v15, vcc
	v_mov_b32_e32 v0, s9
	v_add_co_u32_e32 v14, vcc, s8, v7
	v_addc_co_u32_e32 v15, vcc, v0, v15, vcc
	s_mov_b64 s[4:5], 0
	v_mov_b32_e32 v0, v11
.LBB85_5:                               ; =>This Inner Loop Header: Depth=1
	global_load_dwordx4 v[16:19], v[12:13], off offset:-8
	v_add_co_u32_e32 v12, vcc, 0x400, v12
	v_add_u32_e32 v0, 64, v0
	v_addc_co_u32_e32 v13, vcc, 0, v13, vcc
	v_cmp_le_i32_e32 vcc, s33, v0
	s_or_b64 s[4:5], vcc, s[4:5]
	s_waitcnt vmcnt(0)
	v_mul_f64 v[20:21], v[18:19], -v[3:4]
	v_mul_f64 v[22:23], v[1:2], v[18:19]
	v_fma_f64 v[18:19], v[1:2], v[16:17], v[20:21]
	v_fma_f64 v[20:21], v[3:4], v[16:17], v[22:23]
	global_store_dwordx4 v[14:15], v[18:21], off offset:-8
	v_add_co_u32_e32 v14, vcc, 0x400, v14
	v_addc_co_u32_e32 v15, vcc, 0, v15, vcc
	s_andn2_b64 exec, exec, s[4:5]
	s_cbranch_execnz .LBB85_5
.LBB85_6:
	s_or_b64 exec, exec, s[20:21]
	v_mul_lo_u32 v14, v8, s33
	s_waitcnt vmcnt(0)
	v_subrev_u32_e32 v0, s16, v5
	v_cmp_lt_i32_e32 vcc, v5, v6
	v_mov_b32_e32 v1, s19
	s_and_saveexec_b64 s[4:5], vcc
	s_cbranch_execz .LBB85_24
; %bb.7:
	v_mad_u64_u32 v[1:2], s[20:21], s33, v0, v[11:12]
	s_cmp_lg_u32 s18, 0
	v_subrev_u32_e32 v7, s16, v6
	v_mul_lo_u32 v15, s33, v1
	s_cselect_b64 s[20:21], -1, 0
	s_mul_i32 s19, s33, s33
	s_lshl_b32 s38, s33, 6
	s_mov_b64 s[24:25], 0
	v_mov_b32_e32 v16, s23
                                        ; implicit-def: $sgpr26_sgpr27
	s_branch .LBB85_10
.LBB85_8:                               ;   in Loop: Header=BB85_10 Depth=1
	s_or_b64 exec, exec, s[30:31]
	v_add_u32_e32 v0, 1, v0
	v_cmp_ge_i32_e32 vcc, v0, v7
	s_andn2_b64 s[26:27], s[26:27], exec
	s_and_b64 s[30:31], vcc, exec
	v_add_u32_e32 v15, s19, v15
	s_or_b64 s[26:27], s[26:27], s[30:31]
.LBB85_9:                               ;   in Loop: Header=BB85_10 Depth=1
	s_or_b64 exec, exec, s[28:29]
	s_and_b64 s[28:29], exec, s[26:27]
	s_or_b64 s[24:25], s[28:29], s[24:25]
	s_andn2_b64 exec, exec, s[24:25]
	s_cbranch_execz .LBB85_23
.LBB85_10:                              ; =>This Loop Header: Depth=1
                                        ;     Child Loop BB85_13 Depth 2
                                        ;     Child Loop BB85_17 Depth 2
                                        ;       Child Loop BB85_19 Depth 3
	v_ashrrev_i32_e32 v1, 31, v0
	v_lshlrev_b64 v[1:2], 2, v[0:1]
	s_or_b64 s[26:27], s[26:27], exec
	v_add_co_u32_e32 v1, vcc, s22, v1
	v_addc_co_u32_e32 v2, vcc, v16, v2, vcc
	global_load_dword v1, v[1:2], off
	s_waitcnt vmcnt(0)
	v_subrev_u32_e32 v1, s16, v1
	v_cmp_lt_i32_e32 vcc, v1, v8
	s_and_saveexec_b64 s[28:29], vcc
	s_cbranch_execz .LBB85_9
; %bb.11:                               ;   in Loop: Header=BB85_10 Depth=1
	v_ashrrev_i32_e32 v2, 31, v1
	v_lshlrev_b64 v[2:3], 2, v[1:2]
	v_mov_b32_e32 v4, s11
	v_add_co_u32_e32 v2, vcc, s10, v2
	v_addc_co_u32_e32 v3, vcc, v4, v3, vcc
	global_load_dword v4, v[2:3], off glc
	s_waitcnt vmcnt(0)
	v_cmp_eq_u32_e32 vcc, 0, v4
	s_and_saveexec_b64 s[30:31], vcc
	s_cbranch_execz .LBB85_14
; %bb.12:                               ;   in Loop: Header=BB85_10 Depth=1
	s_mov_b64 s[34:35], 0
.LBB85_13:                              ;   Parent Loop BB85_10 Depth=1
                                        ; =>  This Inner Loop Header: Depth=2
	global_load_dword v4, v[2:3], off glc
	s_waitcnt vmcnt(0)
	v_cmp_ne_u32_e32 vcc, 0, v4
	s_or_b64 s[34:35], vcc, s[34:35]
	s_andn2_b64 exec, exec, s[34:35]
	s_cbranch_execnz .LBB85_13
.LBB85_14:                              ;   in Loop: Header=BB85_10 Depth=1
	s_or_b64 exec, exec, s[30:31]
	buffer_wbinvl1_vol
	s_and_saveexec_b64 s[30:31], s[6:7]
	s_cbranch_execz .LBB85_8
; %bb.15:                               ;   in Loop: Header=BB85_10 Depth=1
	v_mul_lo_u32 v17, v0, s33
	v_mul_lo_u32 v18, v1, s33
	s_mov_b64 s[34:35], 0
	v_mov_b32_e32 v19, v15
	v_mov_b32_e32 v2, v11
	s_branch .LBB85_17
.LBB85_16:                              ;   in Loop: Header=BB85_17 Depth=2
	v_add_u32_e32 v12, v2, v14
	v_ashrrev_i32_e32 v13, 31, v12
	v_lshlrev_b64 v[12:13], 4, v[12:13]
	v_mov_b32_e32 v20, s9
	v_add_co_u32_e32 v12, vcc, s8, v12
	v_addc_co_u32_e32 v13, vcc, v20, v13, vcc
	global_load_dwordx4 v[20:23], v[12:13], off
	v_add_u32_e32 v2, 64, v2
	v_cmp_le_i32_e32 vcc, s33, v2
	s_or_b64 s[34:35], vcc, s[34:35]
	v_add_u32_e32 v19, s38, v19
	s_waitcnt vmcnt(0)
	v_add_f64 v[20:21], v[20:21], -v[5:6]
	v_add_f64 v[22:23], v[22:23], -v[3:4]
	global_store_dwordx4 v[12:13], v[20:23], off
	s_andn2_b64 exec, exec, s[34:35]
	s_cbranch_execz .LBB85_8
.LBB85_17:                              ;   Parent Loop BB85_10 Depth=1
                                        ; =>  This Loop Header: Depth=2
                                        ;       Child Loop BB85_19 Depth 3
	v_mov_b32_e32 v3, 0
	v_mov_b32_e32 v5, 0
	;; [unrolled: 1-line block ×4, first 2 shown]
	s_mov_b32 s23, 0
	s_branch .LBB85_19
.LBB85_18:                              ;   in Loop: Header=BB85_19 Depth=3
	v_ashrrev_i32_e32 v13, 31, v12
	v_lshlrev_b64 v[12:13], 4, v[12:13]
	v_mov_b32_e32 v20, s13
	v_add_co_u32_e32 v12, vcc, s12, v12
	v_addc_co_u32_e32 v13, vcc, v20, v13, vcc
	global_load_dwordx4 v[20:23], v[12:13], off
	v_add_u32_e32 v12, s23, v18
	v_ashrrev_i32_e32 v13, 31, v12
	v_lshlrev_b64 v[12:13], 4, v[12:13]
	v_mov_b32_e32 v24, s9
	v_add_co_u32_e32 v12, vcc, s8, v12
	v_addc_co_u32_e32 v13, vcc, v24, v13, vcc
	global_load_dwordx4 v[24:27], v[12:13], off
	s_add_i32 s23, s23, 1
	s_cmp_eq_u32 s33, s23
	s_waitcnt vmcnt(0)
	v_fma_f64 v[5:6], v[20:21], v[24:25], v[5:6]
	v_fma_f64 v[3:4], v[22:23], v[24:25], v[3:4]
	v_fma_f64 v[5:6], -v[22:23], v[26:27], v[5:6]
	v_fma_f64 v[3:4], v[20:21], v[26:27], v[3:4]
	s_cbranch_scc1 .LBB85_16
.LBB85_19:                              ;   Parent Loop BB85_10 Depth=1
                                        ;     Parent Loop BB85_17 Depth=2
                                        ; =>    This Inner Loop Header: Depth=3
	s_and_b64 vcc, exec, s[20:21]
	s_cbranch_vccz .LBB85_21
; %bb.20:                               ;   in Loop: Header=BB85_19 Depth=3
	v_add_u32_e32 v12, s23, v17
	v_mad_u64_u32 v[12:13], s[36:37], v12, s33, v[2:3]
	s_cbranch_execnz .LBB85_18
	s_branch .LBB85_22
.LBB85_21:                              ;   in Loop: Header=BB85_19 Depth=3
                                        ; implicit-def: $vgpr12
.LBB85_22:                              ;   in Loop: Header=BB85_19 Depth=3
	v_add_u32_e32 v12, s23, v19
	s_branch .LBB85_18
.LBB85_23:
	s_or_b64 exec, exec, s[24:25]
.LBB85_24:
	s_or_b64 exec, exec, s[4:5]
	s_cmp_gt_i32 s33, 0
	v_cmp_eq_u32_e32 vcc, v1, v8
	s_cselect_b64 s[4:5], -1, 0
	s_mov_b32 s26, 0
	s_and_b64 s[6:7], s[4:5], vcc
	s_mov_b64 s[4:5], 0
	s_and_saveexec_b64 s[20:21], s[6:7]
	s_cbranch_execz .LBB85_38
; %bb.25:
	v_mul_lo_u32 v15, v0, s33
	s_cmp_eq_u32 s17, 0
	s_cselect_b64 s[4:5], -1, 0
	s_cmp_lg_u32 s18, 0
	v_add_u32_e32 v0, v15, v11
	v_mul_lo_u32 v0, s33, v0
	v_add_u32_e32 v16, 1, v11
	s_cselect_b64 s[18:19], -1, 0
	s_add_i32 s17, s33, 1
	v_add_u32_e32 v17, s33, v0
	v_cndmask_b32_e64 v0, 0, 1, s[4:5]
	s_lshl_b32 s27, s33, 6
	s_mov_b64 s[24:25], 0
	v_cmp_ne_u32_e64 s[4:5], 1, v0
	v_mov_b32_e32 v18, s9
                                        ; implicit-def: $sgpr22_sgpr23
	s_and_b64 vcc, exec, s[4:5]
	s_cbranch_vccz .LBB85_27
.LBB85_26:
	v_mov_b32_e32 v6, 0
	v_mov_b32_e32 v4, 0
	;; [unrolled: 1-line block ×4, first 2 shown]
	s_branch .LBB85_28
.LBB85_27:
	s_waitcnt vmcnt(0)
	v_add_u32_e32 v0, s26, v15
	v_mul_lo_u32 v0, v0, s33
	v_mov_b32_e32 v2, s13
	v_add_u32_e32 v0, s26, v0
	v_ashrrev_i32_e32 v1, 31, v0
	v_lshlrev_b64 v[0:1], 4, v[0:1]
	v_add_co_u32_e32 v0, vcc, s12, v0
	v_addc_co_u32_e32 v1, vcc, v2, v1, vcc
	global_load_dwordx4 v[4:7], v[0:1], off
.LBB85_28:
	s_waitcnt vmcnt(0)
	v_add_u32_e32 v0, s26, v14
	v_ashrrev_i32_e32 v1, 31, v0
	v_lshlrev_b64 v[0:1], 4, v[0:1]
	s_waitcnt vmcnt(0)
	v_cmp_neq_f64_e64 s[6:7], 0, v[6:7]
	v_add_co_u32_e32 v12, vcc, s8, v0
	v_addc_co_u32_e32 v13, vcc, v18, v1, vcc
	global_load_dwordx4 v[0:3], v[12:13], off
	v_cmp_neq_f64_e32 vcc, 0, v[4:5]
	s_or_b64 s[22:23], s[22:23], exec
	s_or_b64 s[28:29], vcc, s[6:7]
	s_and_saveexec_b64 s[6:7], s[28:29]
	s_cbranch_execz .LBB85_30
; %bb.29:
	v_mul_f64 v[19:20], v[6:7], v[6:7]
	s_andn2_b64 s[22:23], s[22:23], exec
	s_and_b64 s[24:25], s[24:25], exec
	s_or_b64 s[22:23], s[22:23], s[24:25]
	v_fma_f64 v[19:20], v[4:5], v[4:5], v[19:20]
	v_div_scale_f64 v[21:22], s[28:29], v[19:20], v[19:20], 1.0
	v_rcp_f64_e32 v[23:24], v[21:22]
	v_fma_f64 v[25:26], -v[21:22], v[23:24], 1.0
	v_fma_f64 v[23:24], v[23:24], v[25:26], v[23:24]
	v_div_scale_f64 v[25:26], vcc, 1.0, v[19:20], 1.0
	v_fma_f64 v[27:28], -v[21:22], v[23:24], 1.0
	v_fma_f64 v[23:24], v[23:24], v[27:28], v[23:24]
	v_mul_f64 v[27:28], v[25:26], v[23:24]
	v_fma_f64 v[21:22], -v[21:22], v[27:28], v[25:26]
	v_div_fmas_f64 v[21:22], v[21:22], v[23:24], v[27:28]
	s_waitcnt vmcnt(0)
	v_mul_f64 v[23:24], v[6:7], v[2:3]
	v_mul_f64 v[6:7], v[6:7], -v[0:1]
	v_fma_f64 v[0:1], v[0:1], v[4:5], v[23:24]
	v_fma_f64 v[2:3], v[2:3], v[4:5], v[6:7]
	v_div_fixup_f64 v[19:20], v[21:22], v[19:20], 1.0
	v_mul_f64 v[0:1], v[19:20], v[0:1]
	v_mul_f64 v[2:3], v[19:20], v[2:3]
	global_store_dwordx4 v[12:13], v[0:3], off
.LBB85_30:
	s_or_b64 exec, exec, s[6:7]
	v_add_u32_e32 v6, s26, v16
	v_cmp_gt_i32_e32 vcc, s33, v6
	s_and_saveexec_b64 s[6:7], vcc
	s_cbranch_execz .LBB85_35
; %bb.31:
	v_add_u32_e32 v4, s26, v15
	v_mul_lo_u32 v7, v4, s33
	s_mov_b64 s[24:25], 0
	v_mov_b32_e32 v12, v17
	s_branch .LBB85_33
.LBB85_32:                              ;   in Loop: Header=BB85_33 Depth=1
	v_ashrrev_i32_e32 v5, 31, v4
	v_lshlrev_b64 v[4:5], 4, v[4:5]
	v_mov_b32_e32 v13, s13
	v_add_co_u32_e32 v4, vcc, s12, v4
	v_addc_co_u32_e32 v5, vcc, v13, v5, vcc
	global_load_dwordx4 v[19:22], v[4:5], off
	v_add_u32_e32 v4, v14, v6
	v_ashrrev_i32_e32 v5, 31, v4
	v_lshlrev_b64 v[4:5], 4, v[4:5]
	v_mov_b32_e32 v13, s9
	v_add_co_u32_e32 v4, vcc, s8, v4
	v_addc_co_u32_e32 v5, vcc, v13, v5, vcc
	global_load_dwordx4 v[23:26], v[4:5], off
	v_add_u32_e32 v6, 64, v6
	v_cmp_le_i32_e32 vcc, s33, v6
	s_or_b64 s[24:25], vcc, s[24:25]
	v_add_u32_e32 v12, s27, v12
	s_waitcnt vmcnt(1)
	v_mul_f64 v[27:28], v[21:22], -v[2:3]
	v_mul_f64 v[21:22], v[0:1], v[21:22]
	v_fma_f64 v[27:28], v[0:1], v[19:20], v[27:28]
	v_fma_f64 v[21:22], v[2:3], v[19:20], v[21:22]
	s_waitcnt vmcnt(0)
	v_add_f64 v[19:20], v[23:24], -v[27:28]
	v_add_f64 v[21:22], v[25:26], -v[21:22]
	global_store_dwordx4 v[4:5], v[19:22], off
	s_andn2_b64 exec, exec, s[24:25]
	s_cbranch_execz .LBB85_35
.LBB85_33:                              ; =>This Inner Loop Header: Depth=1
	s_andn2_b64 vcc, exec, s[18:19]
	v_mov_b32_e32 v4, v12
	s_cbranch_vccnz .LBB85_32
; %bb.34:                               ;   in Loop: Header=BB85_33 Depth=1
	v_add_u32_e32 v4, v6, v7
	s_branch .LBB85_32
.LBB85_35:
	s_or_b64 exec, exec, s[6:7]
	s_add_i32 s26, s26, 1
	s_cmp_eq_u32 s26, s33
	v_add_u32_e32 v17, s17, v17
	s_cbranch_scc1 .LBB85_37
; %bb.36:
	s_mov_b64 s[24:25], s[22:23]
	s_and_b64 vcc, exec, s[4:5]
	s_cbranch_vccnz .LBB85_26
	s_branch .LBB85_27
.LBB85_37:
	s_and_b64 s[4:5], s[22:23], exec
.LBB85_38:
	s_or_b64 exec, exec, s[20:21]
	v_cmp_eq_u32_e32 vcc, 0, v11
	s_and_b64 exec, exec, vcc
	s_cbranch_execz .LBB85_44
; %bb.39:
	s_waitcnt vmcnt(0)
	v_mov_b32_e32 v1, s11
	v_add_co_u32_e32 v0, vcc, s10, v9
	v_addc_co_u32_e32 v1, vcc, v1, v10, vcc
	v_mov_b32_e32 v2, 1
	global_store_dword v[0:1], v2, off
	s_and_b64 exec, exec, s[4:5]
	s_cbranch_execz .LBB85_44
; %bb.40:
	s_mov_b64 s[4:5], exec
	v_add_u32_e32 v0, s16, v8
	s_brev_b32 s6, -2
.LBB85_41:                              ; =>This Inner Loop Header: Depth=1
	s_ff1_i32_b64 s7, s[4:5]
	v_readlane_b32 s10, v0, s7
	s_lshl_b64 s[8:9], 1, s7
	s_min_i32 s6, s6, s10
	s_andn2_b64 s[4:5], s[4:5], s[8:9]
	s_cmp_lg_u64 s[4:5], 0
	s_cbranch_scc1 .LBB85_41
; %bb.42:
	v_mbcnt_lo_u32_b32 v0, exec_lo, 0
	v_mbcnt_hi_u32_b32 v0, exec_hi, v0
	v_cmp_eq_u32_e32 vcc, 0, v0
	s_and_saveexec_b64 s[4:5], vcc
	s_xor_b64 s[4:5], exec, s[4:5]
	s_cbranch_execz .LBB85_44
; %bb.43:
	v_mov_b32_e32 v0, 0
	v_mov_b32_e32 v1, s6
	global_atomic_smin v0, v1, s[14:15]
.LBB85_44:
	s_endpgm
	.section	.rodata,"a",@progbits
	.p2align	6, 0x0
	.amdhsa_kernel _ZN9rocsparseL19bsrsv_lower_generalILj128ELj64ELb0E21rocsparse_complex_numIdEEEviNS_24const_host_device_scalarIT2_EEPKiS7_PKS4_iS9_PS4_PiSB_SB_21rocsparse_index_base_20rocsparse_diag_type_20rocsparse_direction_b
		.amdhsa_group_segment_fixed_size 0
		.amdhsa_private_segment_fixed_size 16
		.amdhsa_kernarg_size 112
		.amdhsa_user_sgpr_count 8
		.amdhsa_user_sgpr_private_segment_buffer 1
		.amdhsa_user_sgpr_dispatch_ptr 0
		.amdhsa_user_sgpr_queue_ptr 0
		.amdhsa_user_sgpr_kernarg_segment_ptr 1
		.amdhsa_user_sgpr_dispatch_id 0
		.amdhsa_user_sgpr_flat_scratch_init 1
		.amdhsa_user_sgpr_private_segment_size 0
		.amdhsa_uses_dynamic_stack 0
		.amdhsa_system_sgpr_private_segment_wavefront_offset 1
		.amdhsa_system_sgpr_workgroup_id_x 1
		.amdhsa_system_sgpr_workgroup_id_y 0
		.amdhsa_system_sgpr_workgroup_id_z 0
		.amdhsa_system_sgpr_workgroup_info 0
		.amdhsa_system_vgpr_workitem_id 0
		.amdhsa_next_free_vgpr 29
		.amdhsa_next_free_sgpr 39
		.amdhsa_reserve_vcc 1
		.amdhsa_reserve_flat_scratch 1
		.amdhsa_float_round_mode_32 0
		.amdhsa_float_round_mode_16_64 0
		.amdhsa_float_denorm_mode_32 3
		.amdhsa_float_denorm_mode_16_64 3
		.amdhsa_dx10_clamp 1
		.amdhsa_ieee_mode 1
		.amdhsa_fp16_overflow 0
		.amdhsa_exception_fp_ieee_invalid_op 0
		.amdhsa_exception_fp_denorm_src 0
		.amdhsa_exception_fp_ieee_div_zero 0
		.amdhsa_exception_fp_ieee_overflow 0
		.amdhsa_exception_fp_ieee_underflow 0
		.amdhsa_exception_fp_ieee_inexact 0
		.amdhsa_exception_int_div_zero 0
	.end_amdhsa_kernel
	.section	.text._ZN9rocsparseL19bsrsv_lower_generalILj128ELj64ELb0E21rocsparse_complex_numIdEEEviNS_24const_host_device_scalarIT2_EEPKiS7_PKS4_iS9_PS4_PiSB_SB_21rocsparse_index_base_20rocsparse_diag_type_20rocsparse_direction_b,"axG",@progbits,_ZN9rocsparseL19bsrsv_lower_generalILj128ELj64ELb0E21rocsparse_complex_numIdEEEviNS_24const_host_device_scalarIT2_EEPKiS7_PKS4_iS9_PS4_PiSB_SB_21rocsparse_index_base_20rocsparse_diag_type_20rocsparse_direction_b,comdat
.Lfunc_end85:
	.size	_ZN9rocsparseL19bsrsv_lower_generalILj128ELj64ELb0E21rocsparse_complex_numIdEEEviNS_24const_host_device_scalarIT2_EEPKiS7_PKS4_iS9_PS4_PiSB_SB_21rocsparse_index_base_20rocsparse_diag_type_20rocsparse_direction_b, .Lfunc_end85-_ZN9rocsparseL19bsrsv_lower_generalILj128ELj64ELb0E21rocsparse_complex_numIdEEEviNS_24const_host_device_scalarIT2_EEPKiS7_PKS4_iS9_PS4_PiSB_SB_21rocsparse_index_base_20rocsparse_diag_type_20rocsparse_direction_b
                                        ; -- End function
	.set _ZN9rocsparseL19bsrsv_lower_generalILj128ELj64ELb0E21rocsparse_complex_numIdEEEviNS_24const_host_device_scalarIT2_EEPKiS7_PKS4_iS9_PS4_PiSB_SB_21rocsparse_index_base_20rocsparse_diag_type_20rocsparse_direction_b.num_vgpr, 29
	.set _ZN9rocsparseL19bsrsv_lower_generalILj128ELj64ELb0E21rocsparse_complex_numIdEEEviNS_24const_host_device_scalarIT2_EEPKiS7_PKS4_iS9_PS4_PiSB_SB_21rocsparse_index_base_20rocsparse_diag_type_20rocsparse_direction_b.num_agpr, 0
	.set _ZN9rocsparseL19bsrsv_lower_generalILj128ELj64ELb0E21rocsparse_complex_numIdEEEviNS_24const_host_device_scalarIT2_EEPKiS7_PKS4_iS9_PS4_PiSB_SB_21rocsparse_index_base_20rocsparse_diag_type_20rocsparse_direction_b.numbered_sgpr, 39
	.set _ZN9rocsparseL19bsrsv_lower_generalILj128ELj64ELb0E21rocsparse_complex_numIdEEEviNS_24const_host_device_scalarIT2_EEPKiS7_PKS4_iS9_PS4_PiSB_SB_21rocsparse_index_base_20rocsparse_diag_type_20rocsparse_direction_b.num_named_barrier, 0
	.set _ZN9rocsparseL19bsrsv_lower_generalILj128ELj64ELb0E21rocsparse_complex_numIdEEEviNS_24const_host_device_scalarIT2_EEPKiS7_PKS4_iS9_PS4_PiSB_SB_21rocsparse_index_base_20rocsparse_diag_type_20rocsparse_direction_b.private_seg_size, 16
	.set _ZN9rocsparseL19bsrsv_lower_generalILj128ELj64ELb0E21rocsparse_complex_numIdEEEviNS_24const_host_device_scalarIT2_EEPKiS7_PKS4_iS9_PS4_PiSB_SB_21rocsparse_index_base_20rocsparse_diag_type_20rocsparse_direction_b.uses_vcc, 1
	.set _ZN9rocsparseL19bsrsv_lower_generalILj128ELj64ELb0E21rocsparse_complex_numIdEEEviNS_24const_host_device_scalarIT2_EEPKiS7_PKS4_iS9_PS4_PiSB_SB_21rocsparse_index_base_20rocsparse_diag_type_20rocsparse_direction_b.uses_flat_scratch, 1
	.set _ZN9rocsparseL19bsrsv_lower_generalILj128ELj64ELb0E21rocsparse_complex_numIdEEEviNS_24const_host_device_scalarIT2_EEPKiS7_PKS4_iS9_PS4_PiSB_SB_21rocsparse_index_base_20rocsparse_diag_type_20rocsparse_direction_b.has_dyn_sized_stack, 0
	.set _ZN9rocsparseL19bsrsv_lower_generalILj128ELj64ELb0E21rocsparse_complex_numIdEEEviNS_24const_host_device_scalarIT2_EEPKiS7_PKS4_iS9_PS4_PiSB_SB_21rocsparse_index_base_20rocsparse_diag_type_20rocsparse_direction_b.has_recursion, 0
	.set _ZN9rocsparseL19bsrsv_lower_generalILj128ELj64ELb0E21rocsparse_complex_numIdEEEviNS_24const_host_device_scalarIT2_EEPKiS7_PKS4_iS9_PS4_PiSB_SB_21rocsparse_index_base_20rocsparse_diag_type_20rocsparse_direction_b.has_indirect_call, 0
	.section	.AMDGPU.csdata,"",@progbits
; Kernel info:
; codeLenInByte = 1872
; TotalNumSgprs: 45
; NumVgprs: 29
; ScratchSize: 16
; MemoryBound: 0
; FloatMode: 240
; IeeeMode: 1
; LDSByteSize: 0 bytes/workgroup (compile time only)
; SGPRBlocks: 5
; VGPRBlocks: 7
; NumSGPRsForWavesPerEU: 45
; NumVGPRsForWavesPerEU: 29
; Occupancy: 8
; WaveLimiterHint : 1
; COMPUTE_PGM_RSRC2:SCRATCH_EN: 1
; COMPUTE_PGM_RSRC2:USER_SGPR: 8
; COMPUTE_PGM_RSRC2:TRAP_HANDLER: 0
; COMPUTE_PGM_RSRC2:TGID_X_EN: 1
; COMPUTE_PGM_RSRC2:TGID_Y_EN: 0
; COMPUTE_PGM_RSRC2:TGID_Z_EN: 0
; COMPUTE_PGM_RSRC2:TIDIG_COMP_CNT: 0
	.section	.text._ZN9rocsparseL19bsrsv_upper_generalILj128ELj64ELb1E21rocsparse_complex_numIdEEEviNS_24const_host_device_scalarIT2_EEPKiS7_PKS4_iS9_PS4_PiSB_SB_21rocsparse_index_base_20rocsparse_diag_type_20rocsparse_direction_b,"axG",@progbits,_ZN9rocsparseL19bsrsv_upper_generalILj128ELj64ELb1E21rocsparse_complex_numIdEEEviNS_24const_host_device_scalarIT2_EEPKiS7_PKS4_iS9_PS4_PiSB_SB_21rocsparse_index_base_20rocsparse_diag_type_20rocsparse_direction_b,comdat
	.globl	_ZN9rocsparseL19bsrsv_upper_generalILj128ELj64ELb1E21rocsparse_complex_numIdEEEviNS_24const_host_device_scalarIT2_EEPKiS7_PKS4_iS9_PS4_PiSB_SB_21rocsparse_index_base_20rocsparse_diag_type_20rocsparse_direction_b ; -- Begin function _ZN9rocsparseL19bsrsv_upper_generalILj128ELj64ELb1E21rocsparse_complex_numIdEEEviNS_24const_host_device_scalarIT2_EEPKiS7_PKS4_iS9_PS4_PiSB_SB_21rocsparse_index_base_20rocsparse_diag_type_20rocsparse_direction_b
	.p2align	8
	.type	_ZN9rocsparseL19bsrsv_upper_generalILj128ELj64ELb1E21rocsparse_complex_numIdEEEviNS_24const_host_device_scalarIT2_EEPKiS7_PKS4_iS9_PS4_PiSB_SB_21rocsparse_index_base_20rocsparse_diag_type_20rocsparse_direction_b,@function
_ZN9rocsparseL19bsrsv_upper_generalILj128ELj64ELb1E21rocsparse_complex_numIdEEEviNS_24const_host_device_scalarIT2_EEPKiS7_PKS4_iS9_PS4_PiSB_SB_21rocsparse_index_base_20rocsparse_diag_type_20rocsparse_direction_b: ; @_ZN9rocsparseL19bsrsv_upper_generalILj128ELj64ELb1E21rocsparse_complex_numIdEEEviNS_24const_host_device_scalarIT2_EEPKiS7_PKS4_iS9_PS4_PiSB_SB_21rocsparse_index_base_20rocsparse_diag_type_20rocsparse_direction_b
; %bb.0:
	s_add_u32 flat_scratch_lo, s6, s9
	s_load_dwordx4 s[16:19], s[4:5], 0x60
	s_load_dwordx4 s[12:15], s[4:5], 0x8
	s_addc_u32 flat_scratch_hi, s7, 0
	s_add_u32 s0, s0, s9
	s_addc_u32 s1, s1, 0
	s_waitcnt lgkmcnt(0)
	s_bitcmp1_b32 s19, 0
	s_cselect_b64 s[10:11], -1, 0
	s_mov_b64 s[6:7], src_private_base
	v_mov_b32_e32 v1, s13
	s_and_b64 vcc, s[10:11], exec
	buffer_store_dword v1, off, s[0:3], 0 offset:4
	v_mov_b32_e32 v1, s12
	s_cselect_b32 s6, s7, s13
	s_cselect_b32 s7, 0, s12
	buffer_store_dword v1, off, s[0:3], 0
	v_mov_b32_e32 v1, s7
	v_mov_b32_e32 v2, s6
	flat_load_dwordx2 v[1:2], v[1:2]
	v_mov_b32_e32 v3, s14
	v_mov_b32_e32 v4, s15
	s_cbranch_vccnz .LBB86_2
; %bb.1:
	v_mov_b32_e32 v3, s12
	v_mov_b32_e32 v4, s13
	flat_load_dwordx2 v[3:4], v[3:4] offset:8
.LBB86_2:
	s_load_dword s19, s[4:5], 0x0
	s_lshl_b32 s6, s8, 1
	v_lshrrev_b32_e32 v5, 6, v0
	s_and_b32 s6, s6, 0x3fffffe
	v_or_b32_e32 v5, s6, v5
	s_waitcnt lgkmcnt(0)
	v_cmp_gt_i32_e32 vcc, s19, v5
	s_and_saveexec_b64 s[6:7], vcc
	s_cbranch_execz .LBB86_47
; %bb.3:
	s_load_dwordx8 s[8:15], s[4:5], 0x40
	v_lshlrev_b32_e32 v5, 2, v5
	s_load_dword s33, s[4:5], 0x30
	v_and_b32_e32 v11, 63, v0
	s_waitcnt lgkmcnt(0)
	global_load_dword v8, v5, s[12:13]
	s_load_dwordx4 s[20:23], s[4:5], 0x18
	s_load_dwordx2 s[12:13], s[4:5], 0x28
	v_cmp_gt_i32_e64 s[6:7], s33, v11
	s_waitcnt lgkmcnt(0)
	v_mov_b32_e32 v6, s21
	s_waitcnt vmcnt(0)
	v_ashrrev_i32_e32 v9, 31, v8
	v_lshlrev_b64 v[9:10], 2, v[8:9]
	v_add_co_u32_e32 v5, vcc, s20, v9
	v_addc_co_u32_e32 v6, vcc, v6, v10, vcc
	global_load_dwordx2 v[5:6], v[5:6], off
	s_and_saveexec_b64 s[20:21], s[6:7]
	s_cbranch_execz .LBB86_6
; %bb.4:
	v_mad_u64_u32 v[12:13], s[24:25], v8, s33, v[11:12]
	s_load_dwordx2 s[4:5], s[4:5], 0x38
	v_ashrrev_i32_e32 v13, 31, v12
	v_lshlrev_b64 v[14:15], 4, v[12:13]
	s_waitcnt lgkmcnt(0)
	v_mov_b32_e32 v0, s5
	v_or_b32_e32 v7, 8, v14
	v_add_co_u32_e32 v12, vcc, s4, v7
	v_addc_co_u32_e32 v13, vcc, v0, v15, vcc
	v_mov_b32_e32 v0, s9
	v_add_co_u32_e32 v14, vcc, s8, v7
	v_addc_co_u32_e32 v15, vcc, v0, v15, vcc
	s_mov_b64 s[4:5], 0
	v_mov_b32_e32 v0, v11
.LBB86_5:                               ; =>This Inner Loop Header: Depth=1
	global_load_dwordx4 v[16:19], v[12:13], off offset:-8
	v_add_co_u32_e32 v12, vcc, 0x400, v12
	v_add_u32_e32 v0, 64, v0
	v_addc_co_u32_e32 v13, vcc, 0, v13, vcc
	v_cmp_le_i32_e32 vcc, s33, v0
	s_or_b64 s[4:5], vcc, s[4:5]
	s_waitcnt vmcnt(0)
	v_mul_f64 v[20:21], v[18:19], -v[3:4]
	v_mul_f64 v[22:23], v[1:2], v[18:19]
	v_fma_f64 v[18:19], v[1:2], v[16:17], v[20:21]
	v_fma_f64 v[20:21], v[3:4], v[16:17], v[22:23]
	global_store_dwordx4 v[14:15], v[18:21], off offset:-8
	v_add_co_u32_e32 v14, vcc, 0x400, v14
	v_addc_co_u32_e32 v15, vcc, 0, v15, vcc
	s_andn2_b64 exec, exec, s[4:5]
	s_cbranch_execnz .LBB86_5
.LBB86_6:
	s_or_b64 exec, exec, s[20:21]
	v_mul_lo_u32 v14, v8, s33
	s_waitcnt vmcnt(0)
	v_subrev_u32_e32 v7, s16, v5
	v_xad_u32 v0, s16, -1, v6
	v_cmp_ge_i32_e32 vcc, v0, v7
	v_mov_b32_e32 v1, s19
	s_and_saveexec_b64 s[4:5], vcc
	s_cbranch_execz .LBB86_26
; %bb.7:
	v_mad_u64_u32 v[1:2], s[20:21], s33, v0, v[11:12]
	s_cmp_lg_u32 s18, 0
	s_cselect_b64 s[20:21], -1, 0
	v_mul_lo_u32 v15, s33, v1
	s_mul_i32 s19, s33, s33
	s_lshl_b32 s38, s33, 6
	s_mov_b64 s[24:25], 0
	v_mov_b32_e32 v16, s23
                                        ; implicit-def: $sgpr26_sgpr27
	s_branch .LBB86_10
.LBB86_8:                               ;   in Loop: Header=BB86_10 Depth=1
	s_or_b64 exec, exec, s[30:31]
	v_cmp_le_i32_e32 vcc, v0, v7
	v_add_u32_e32 v2, -1, v0
	s_andn2_b64 s[26:27], s[26:27], exec
	s_and_b64 s[30:31], vcc, exec
	v_subrev_u32_e32 v15, s19, v15
	s_or_b64 s[26:27], s[26:27], s[30:31]
	v_mov_b32_e32 v0, v2
.LBB86_9:                               ;   in Loop: Header=BB86_10 Depth=1
	s_or_b64 exec, exec, s[28:29]
	s_and_b64 s[28:29], exec, s[26:27]
	s_or_b64 s[24:25], s[28:29], s[24:25]
	s_andn2_b64 exec, exec, s[24:25]
	s_cbranch_execz .LBB86_25
.LBB86_10:                              ; =>This Loop Header: Depth=1
                                        ;     Child Loop BB86_14 Depth 2
                                        ;       Child Loop BB86_15 Depth 3
                                        ;     Child Loop BB86_19 Depth 2
                                        ;       Child Loop BB86_21 Depth 3
	v_ashrrev_i32_e32 v1, 31, v0
	v_lshlrev_b64 v[1:2], 2, v[0:1]
	s_or_b64 s[26:27], s[26:27], exec
	v_add_co_u32_e32 v1, vcc, s22, v1
	v_addc_co_u32_e32 v2, vcc, v16, v2, vcc
	global_load_dword v1, v[1:2], off
	s_waitcnt vmcnt(0)
	v_subrev_u32_e32 v1, s16, v1
	v_cmp_gt_i32_e32 vcc, v1, v8
	s_and_saveexec_b64 s[28:29], vcc
	s_cbranch_execz .LBB86_9
; %bb.11:                               ;   in Loop: Header=BB86_10 Depth=1
	v_ashrrev_i32_e32 v2, 31, v1
	v_lshlrev_b64 v[2:3], 2, v[1:2]
	v_mov_b32_e32 v4, s11
	v_add_co_u32_e32 v2, vcc, s10, v2
	v_addc_co_u32_e32 v3, vcc, v4, v3, vcc
	global_load_dword v4, v[2:3], off glc
	s_waitcnt vmcnt(0)
	v_cmp_eq_u32_e32 vcc, 0, v4
	s_and_saveexec_b64 s[30:31], vcc
	s_cbranch_execz .LBB86_16
; %bb.12:                               ;   in Loop: Header=BB86_10 Depth=1
	s_mov_b32 s23, 0
	s_mov_b64 s[34:35], 0
	s_branch .LBB86_14
.LBB86_13:                              ;   in Loop: Header=BB86_14 Depth=2
	global_load_dword v4, v[2:3], off glc
	s_cmpk_lt_u32 s23, 0xf43
	s_cselect_b64 s[36:37], -1, 0
	s_cmp_lg_u64 s[36:37], 0
	s_addc_u32 s23, s23, 0
	s_waitcnt vmcnt(0)
	v_cmp_ne_u32_e32 vcc, 0, v4
	s_or_b64 s[34:35], vcc, s[34:35]
	s_andn2_b64 exec, exec, s[34:35]
	s_cbranch_execz .LBB86_16
.LBB86_14:                              ;   Parent Loop BB86_10 Depth=1
                                        ; =>  This Loop Header: Depth=2
                                        ;       Child Loop BB86_15 Depth 3
	s_cmp_eq_u32 s23, 0
	s_mov_b32 s36, s23
	s_cbranch_scc1 .LBB86_13
.LBB86_15:                              ;   Parent Loop BB86_10 Depth=1
                                        ;     Parent Loop BB86_14 Depth=2
                                        ; =>    This Inner Loop Header: Depth=3
	s_add_i32 s36, s36, -1
	s_cmp_eq_u32 s36, 0
	s_sleep 1
	s_cbranch_scc0 .LBB86_15
	s_branch .LBB86_13
.LBB86_16:                              ;   in Loop: Header=BB86_10 Depth=1
	s_or_b64 exec, exec, s[30:31]
	buffer_wbinvl1_vol
	s_and_saveexec_b64 s[30:31], s[6:7]
	s_cbranch_execz .LBB86_8
; %bb.17:                               ;   in Loop: Header=BB86_10 Depth=1
	v_mul_lo_u32 v17, v0, s33
	v_mul_lo_u32 v18, v1, s33
	s_mov_b64 s[34:35], 0
	v_mov_b32_e32 v19, v15
	v_mov_b32_e32 v2, v11
	s_branch .LBB86_19
.LBB86_18:                              ;   in Loop: Header=BB86_19 Depth=2
	v_add_u32_e32 v12, v2, v14
	v_ashrrev_i32_e32 v13, 31, v12
	v_lshlrev_b64 v[12:13], 4, v[12:13]
	v_mov_b32_e32 v20, s9
	v_add_co_u32_e32 v12, vcc, s8, v12
	v_addc_co_u32_e32 v13, vcc, v20, v13, vcc
	global_load_dwordx4 v[20:23], v[12:13], off
	v_add_u32_e32 v2, 64, v2
	v_cmp_le_i32_e32 vcc, s33, v2
	s_or_b64 s[34:35], vcc, s[34:35]
	v_add_u32_e32 v19, s38, v19
	s_waitcnt vmcnt(0)
	v_add_f64 v[20:21], v[20:21], -v[5:6]
	v_add_f64 v[22:23], v[22:23], -v[3:4]
	global_store_dwordx4 v[12:13], v[20:23], off
	s_andn2_b64 exec, exec, s[34:35]
	s_cbranch_execz .LBB86_8
.LBB86_19:                              ;   Parent Loop BB86_10 Depth=1
                                        ; =>  This Loop Header: Depth=2
                                        ;       Child Loop BB86_21 Depth 3
	v_mov_b32_e32 v3, 0
	v_mov_b32_e32 v5, 0
	;; [unrolled: 1-line block ×4, first 2 shown]
	s_mov_b32 s23, 0
	s_branch .LBB86_21
.LBB86_20:                              ;   in Loop: Header=BB86_21 Depth=3
	v_ashrrev_i32_e32 v13, 31, v12
	v_lshlrev_b64 v[12:13], 4, v[12:13]
	v_mov_b32_e32 v20, s13
	v_add_co_u32_e32 v12, vcc, s12, v12
	v_addc_co_u32_e32 v13, vcc, v20, v13, vcc
	global_load_dwordx4 v[20:23], v[12:13], off
	v_add_u32_e32 v12, s23, v18
	v_ashrrev_i32_e32 v13, 31, v12
	v_lshlrev_b64 v[12:13], 4, v[12:13]
	v_mov_b32_e32 v24, s9
	v_add_co_u32_e32 v12, vcc, s8, v12
	v_addc_co_u32_e32 v13, vcc, v24, v13, vcc
	global_load_dwordx4 v[24:27], v[12:13], off
	s_add_i32 s23, s23, 1
	s_cmp_eq_u32 s33, s23
	s_waitcnt vmcnt(0)
	v_fma_f64 v[5:6], v[20:21], v[24:25], v[5:6]
	v_fma_f64 v[3:4], v[22:23], v[24:25], v[3:4]
	v_fma_f64 v[5:6], -v[22:23], v[26:27], v[5:6]
	v_fma_f64 v[3:4], v[20:21], v[26:27], v[3:4]
	s_cbranch_scc1 .LBB86_18
.LBB86_21:                              ;   Parent Loop BB86_10 Depth=1
                                        ;     Parent Loop BB86_19 Depth=2
                                        ; =>    This Inner Loop Header: Depth=3
	s_and_b64 vcc, exec, s[20:21]
	s_cbranch_vccz .LBB86_23
; %bb.22:                               ;   in Loop: Header=BB86_21 Depth=3
	v_add_u32_e32 v12, s23, v17
	v_mad_u64_u32 v[12:13], s[36:37], v12, s33, v[2:3]
	s_cbranch_execnz .LBB86_20
	s_branch .LBB86_24
.LBB86_23:                              ;   in Loop: Header=BB86_21 Depth=3
                                        ; implicit-def: $vgpr12
.LBB86_24:                              ;   in Loop: Header=BB86_21 Depth=3
	v_add_u32_e32 v12, s23, v19
	s_branch .LBB86_20
.LBB86_25:
	s_or_b64 exec, exec, s[24:25]
.LBB86_26:
	s_or_b64 exec, exec, s[4:5]
	s_cmp_gt_i32 s33, 0
	v_cmp_eq_u32_e32 vcc, v1, v8
	s_cselect_b64 s[4:5], -1, 0
	s_and_b64 s[6:7], s[4:5], vcc
	s_mov_b64 s[4:5], 0
	s_and_saveexec_b64 s[20:21], s[6:7]
	s_cbranch_execz .LBB86_41
; %bb.27:
	v_mul_lo_u32 v15, v0, s33
	s_cmp_eq_u32 s17, 0
	s_cselect_b64 s[4:5], -1, 0
	s_cmp_lg_u32 s18, 0
	v_add_u32_e32 v0, v15, v11
	v_mul_lo_u32 v0, s33, v0
	v_ashrrev_i32_e32 v16, 31, v14
	s_cselect_b64 s[18:19], -1, 0
	s_lshl_b32 s17, s33, 6
	v_add3_u32 v17, v0, s33, -1
	v_cndmask_b32_e64 v0, 0, 1, s[4:5]
	s_mov_b64 s[24:25], 0
	v_cmp_ne_u32_e64 s[4:5], 1, v0
	v_mov_b32_e32 v18, s9
                                        ; implicit-def: $sgpr22_sgpr23
	s_mov_b32 s26, s33
	s_and_b64 vcc, exec, s[4:5]
	s_add_i32 s27, s26, -1
	s_cbranch_vccz .LBB86_29
.LBB86_28:
	v_mov_b32_e32 v6, 0
	v_mov_b32_e32 v4, 0
	;; [unrolled: 1-line block ×4, first 2 shown]
	s_branch .LBB86_30
.LBB86_29:
	s_waitcnt vmcnt(0)
	v_add_u32_e32 v0, s27, v15
	v_mul_lo_u32 v0, v0, s33
	v_mov_b32_e32 v2, s13
	v_add_u32_e32 v0, s27, v0
	v_ashrrev_i32_e32 v1, 31, v0
	v_lshlrev_b64 v[0:1], 4, v[0:1]
	v_add_co_u32_e32 v0, vcc, s12, v0
	v_addc_co_u32_e32 v1, vcc, v2, v1, vcc
	global_load_dwordx4 v[4:7], v[0:1], off
.LBB86_30:
	s_ashr_i32 s6, s26, 31
	s_waitcnt vmcnt(0)
	v_mov_b32_e32 v1, s6
	v_add_co_u32_e32 v0, vcc, s26, v14
	v_addc_co_u32_e32 v1, vcc, v1, v16, vcc
	v_lshlrev_b64 v[0:1], 4, v[0:1]
	s_waitcnt vmcnt(0)
	v_cmp_neq_f64_e64 s[6:7], 0, v[6:7]
	v_add_co_u32_e32 v12, vcc, s8, v0
	v_addc_co_u32_e32 v13, vcc, v18, v1, vcc
	global_load_dwordx4 v[0:3], v[12:13], off offset:-16
	v_cmp_neq_f64_e32 vcc, 0, v[4:5]
	s_or_b64 s[22:23], s[22:23], exec
	s_or_b64 s[28:29], vcc, s[6:7]
	s_and_saveexec_b64 s[6:7], s[28:29]
	s_cbranch_execz .LBB86_32
; %bb.31:
	v_mul_f64 v[19:20], v[6:7], v[6:7]
	s_andn2_b64 s[22:23], s[22:23], exec
	s_and_b64 s[24:25], s[24:25], exec
	s_or_b64 s[22:23], s[22:23], s[24:25]
	v_fma_f64 v[19:20], v[4:5], v[4:5], v[19:20]
	v_div_scale_f64 v[21:22], s[28:29], v[19:20], v[19:20], 1.0
	v_rcp_f64_e32 v[23:24], v[21:22]
	v_fma_f64 v[25:26], -v[21:22], v[23:24], 1.0
	v_fma_f64 v[23:24], v[23:24], v[25:26], v[23:24]
	v_div_scale_f64 v[25:26], vcc, 1.0, v[19:20], 1.0
	v_fma_f64 v[27:28], -v[21:22], v[23:24], 1.0
	v_fma_f64 v[23:24], v[23:24], v[27:28], v[23:24]
	v_mul_f64 v[27:28], v[25:26], v[23:24]
	v_fma_f64 v[21:22], -v[21:22], v[27:28], v[25:26]
	v_div_fmas_f64 v[21:22], v[21:22], v[23:24], v[27:28]
	s_waitcnt vmcnt(0)
	v_mul_f64 v[23:24], v[6:7], v[2:3]
	v_mul_f64 v[6:7], v[6:7], -v[0:1]
	v_fma_f64 v[0:1], v[0:1], v[4:5], v[23:24]
	v_fma_f64 v[2:3], v[2:3], v[4:5], v[6:7]
	v_div_fixup_f64 v[19:20], v[21:22], v[19:20], 1.0
	v_mul_f64 v[0:1], v[19:20], v[0:1]
	v_mul_f64 v[2:3], v[19:20], v[2:3]
	global_store_dwordx4 v[12:13], v[0:3], off offset:-16
.LBB86_32:
	s_or_b64 exec, exec, s[6:7]
	v_cmp_gt_i32_e32 vcc, s27, v11
	s_and_saveexec_b64 s[6:7], vcc
	s_cbranch_execz .LBB86_37
; %bb.33:
	v_add_u32_e32 v4, s27, v15
	v_mul_lo_u32 v6, v4, s33
	s_mov_b64 s[24:25], 0
	v_mov_b32_e32 v7, v17
	v_mov_b32_e32 v12, v11
	s_branch .LBB86_35
.LBB86_34:                              ;   in Loop: Header=BB86_35 Depth=1
	v_ashrrev_i32_e32 v5, 31, v4
	v_lshlrev_b64 v[4:5], 4, v[4:5]
	v_mov_b32_e32 v13, s13
	v_add_co_u32_e32 v4, vcc, s12, v4
	v_addc_co_u32_e32 v5, vcc, v13, v5, vcc
	global_load_dwordx4 v[19:22], v[4:5], off
	v_add_u32_e32 v4, v14, v12
	v_ashrrev_i32_e32 v5, 31, v4
	v_lshlrev_b64 v[4:5], 4, v[4:5]
	v_mov_b32_e32 v13, s9
	v_add_co_u32_e32 v4, vcc, s8, v4
	v_addc_co_u32_e32 v5, vcc, v13, v5, vcc
	global_load_dwordx4 v[23:26], v[4:5], off
	v_add_u32_e32 v12, 64, v12
	v_cmp_le_i32_e32 vcc, s27, v12
	s_or_b64 s[24:25], vcc, s[24:25]
	v_add_u32_e32 v7, s17, v7
	s_waitcnt vmcnt(1)
	v_mul_f64 v[27:28], v[21:22], -v[2:3]
	v_mul_f64 v[21:22], v[0:1], v[21:22]
	v_fma_f64 v[27:28], v[0:1], v[19:20], v[27:28]
	v_fma_f64 v[21:22], v[2:3], v[19:20], v[21:22]
	s_waitcnt vmcnt(0)
	v_add_f64 v[19:20], v[23:24], -v[27:28]
	v_add_f64 v[21:22], v[25:26], -v[21:22]
	global_store_dwordx4 v[4:5], v[19:22], off
	s_andn2_b64 exec, exec, s[24:25]
	s_cbranch_execz .LBB86_37
.LBB86_35:                              ; =>This Inner Loop Header: Depth=1
	s_andn2_b64 vcc, exec, s[18:19]
	v_mov_b32_e32 v4, v7
	s_cbranch_vccnz .LBB86_34
; %bb.36:                               ;   in Loop: Header=BB86_35 Depth=1
	v_add_u32_e32 v4, v12, v6
	s_branch .LBB86_34
.LBB86_37:
	s_or_b64 exec, exec, s[6:7]
; %bb.38:
	s_cmp_lt_i32 s26, 2
	v_add_u32_e32 v17, -1, v17
	s_cbranch_scc1 .LBB86_40
; %bb.39:
	s_mov_b64 s[24:25], s[22:23]
	s_mov_b32 s26, s27
	s_and_b64 vcc, exec, s[4:5]
	s_add_i32 s27, s26, -1
	s_cbranch_vccnz .LBB86_28
	s_branch .LBB86_29
.LBB86_40:
	s_and_b64 s[4:5], s[22:23], exec
.LBB86_41:
	s_or_b64 exec, exec, s[20:21]
	v_cmp_eq_u32_e32 vcc, 0, v11
	s_and_b64 exec, exec, vcc
	s_cbranch_execz .LBB86_47
; %bb.42:
	s_waitcnt vmcnt(0)
	v_mov_b32_e32 v1, s11
	v_add_co_u32_e32 v0, vcc, s10, v9
	v_addc_co_u32_e32 v1, vcc, v1, v10, vcc
	v_mov_b32_e32 v2, 1
	global_store_dword v[0:1], v2, off
	s_and_b64 exec, exec, s[4:5]
	s_cbranch_execz .LBB86_47
; %bb.43:
	s_mov_b64 s[4:5], exec
	v_add_u32_e32 v0, s16, v8
	s_brev_b32 s6, -2
.LBB86_44:                              ; =>This Inner Loop Header: Depth=1
	s_ff1_i32_b64 s7, s[4:5]
	v_readlane_b32 s10, v0, s7
	s_lshl_b64 s[8:9], 1, s7
	s_min_i32 s6, s6, s10
	s_andn2_b64 s[4:5], s[4:5], s[8:9]
	s_cmp_lg_u64 s[4:5], 0
	s_cbranch_scc1 .LBB86_44
; %bb.45:
	v_mbcnt_lo_u32_b32 v0, exec_lo, 0
	v_mbcnt_hi_u32_b32 v0, exec_hi, v0
	v_cmp_eq_u32_e32 vcc, 0, v0
	s_and_saveexec_b64 s[4:5], vcc
	s_xor_b64 s[4:5], exec, s[4:5]
	s_cbranch_execz .LBB86_47
; %bb.46:
	v_mov_b32_e32 v0, 0
	v_mov_b32_e32 v1, s6
	global_atomic_smin v0, v1, s[14:15]
.LBB86_47:
	s_endpgm
	.section	.rodata,"a",@progbits
	.p2align	6, 0x0
	.amdhsa_kernel _ZN9rocsparseL19bsrsv_upper_generalILj128ELj64ELb1E21rocsparse_complex_numIdEEEviNS_24const_host_device_scalarIT2_EEPKiS7_PKS4_iS9_PS4_PiSB_SB_21rocsparse_index_base_20rocsparse_diag_type_20rocsparse_direction_b
		.amdhsa_group_segment_fixed_size 0
		.amdhsa_private_segment_fixed_size 16
		.amdhsa_kernarg_size 112
		.amdhsa_user_sgpr_count 8
		.amdhsa_user_sgpr_private_segment_buffer 1
		.amdhsa_user_sgpr_dispatch_ptr 0
		.amdhsa_user_sgpr_queue_ptr 0
		.amdhsa_user_sgpr_kernarg_segment_ptr 1
		.amdhsa_user_sgpr_dispatch_id 0
		.amdhsa_user_sgpr_flat_scratch_init 1
		.amdhsa_user_sgpr_private_segment_size 0
		.amdhsa_uses_dynamic_stack 0
		.amdhsa_system_sgpr_private_segment_wavefront_offset 1
		.amdhsa_system_sgpr_workgroup_id_x 1
		.amdhsa_system_sgpr_workgroup_id_y 0
		.amdhsa_system_sgpr_workgroup_id_z 0
		.amdhsa_system_sgpr_workgroup_info 0
		.amdhsa_system_vgpr_workitem_id 0
		.amdhsa_next_free_vgpr 29
		.amdhsa_next_free_sgpr 39
		.amdhsa_reserve_vcc 1
		.amdhsa_reserve_flat_scratch 1
		.amdhsa_float_round_mode_32 0
		.amdhsa_float_round_mode_16_64 0
		.amdhsa_float_denorm_mode_32 3
		.amdhsa_float_denorm_mode_16_64 3
		.amdhsa_dx10_clamp 1
		.amdhsa_ieee_mode 1
		.amdhsa_fp16_overflow 0
		.amdhsa_exception_fp_ieee_invalid_op 0
		.amdhsa_exception_fp_denorm_src 0
		.amdhsa_exception_fp_ieee_div_zero 0
		.amdhsa_exception_fp_ieee_overflow 0
		.amdhsa_exception_fp_ieee_underflow 0
		.amdhsa_exception_fp_ieee_inexact 0
		.amdhsa_exception_int_div_zero 0
	.end_amdhsa_kernel
	.section	.text._ZN9rocsparseL19bsrsv_upper_generalILj128ELj64ELb1E21rocsparse_complex_numIdEEEviNS_24const_host_device_scalarIT2_EEPKiS7_PKS4_iS9_PS4_PiSB_SB_21rocsparse_index_base_20rocsparse_diag_type_20rocsparse_direction_b,"axG",@progbits,_ZN9rocsparseL19bsrsv_upper_generalILj128ELj64ELb1E21rocsparse_complex_numIdEEEviNS_24const_host_device_scalarIT2_EEPKiS7_PKS4_iS9_PS4_PiSB_SB_21rocsparse_index_base_20rocsparse_diag_type_20rocsparse_direction_b,comdat
.Lfunc_end86:
	.size	_ZN9rocsparseL19bsrsv_upper_generalILj128ELj64ELb1E21rocsparse_complex_numIdEEEviNS_24const_host_device_scalarIT2_EEPKiS7_PKS4_iS9_PS4_PiSB_SB_21rocsparse_index_base_20rocsparse_diag_type_20rocsparse_direction_b, .Lfunc_end86-_ZN9rocsparseL19bsrsv_upper_generalILj128ELj64ELb1E21rocsparse_complex_numIdEEEviNS_24const_host_device_scalarIT2_EEPKiS7_PKS4_iS9_PS4_PiSB_SB_21rocsparse_index_base_20rocsparse_diag_type_20rocsparse_direction_b
                                        ; -- End function
	.set _ZN9rocsparseL19bsrsv_upper_generalILj128ELj64ELb1E21rocsparse_complex_numIdEEEviNS_24const_host_device_scalarIT2_EEPKiS7_PKS4_iS9_PS4_PiSB_SB_21rocsparse_index_base_20rocsparse_diag_type_20rocsparse_direction_b.num_vgpr, 29
	.set _ZN9rocsparseL19bsrsv_upper_generalILj128ELj64ELb1E21rocsparse_complex_numIdEEEviNS_24const_host_device_scalarIT2_EEPKiS7_PKS4_iS9_PS4_PiSB_SB_21rocsparse_index_base_20rocsparse_diag_type_20rocsparse_direction_b.num_agpr, 0
	.set _ZN9rocsparseL19bsrsv_upper_generalILj128ELj64ELb1E21rocsparse_complex_numIdEEEviNS_24const_host_device_scalarIT2_EEPKiS7_PKS4_iS9_PS4_PiSB_SB_21rocsparse_index_base_20rocsparse_diag_type_20rocsparse_direction_b.numbered_sgpr, 39
	.set _ZN9rocsparseL19bsrsv_upper_generalILj128ELj64ELb1E21rocsparse_complex_numIdEEEviNS_24const_host_device_scalarIT2_EEPKiS7_PKS4_iS9_PS4_PiSB_SB_21rocsparse_index_base_20rocsparse_diag_type_20rocsparse_direction_b.num_named_barrier, 0
	.set _ZN9rocsparseL19bsrsv_upper_generalILj128ELj64ELb1E21rocsparse_complex_numIdEEEviNS_24const_host_device_scalarIT2_EEPKiS7_PKS4_iS9_PS4_PiSB_SB_21rocsparse_index_base_20rocsparse_diag_type_20rocsparse_direction_b.private_seg_size, 16
	.set _ZN9rocsparseL19bsrsv_upper_generalILj128ELj64ELb1E21rocsparse_complex_numIdEEEviNS_24const_host_device_scalarIT2_EEPKiS7_PKS4_iS9_PS4_PiSB_SB_21rocsparse_index_base_20rocsparse_diag_type_20rocsparse_direction_b.uses_vcc, 1
	.set _ZN9rocsparseL19bsrsv_upper_generalILj128ELj64ELb1E21rocsparse_complex_numIdEEEviNS_24const_host_device_scalarIT2_EEPKiS7_PKS4_iS9_PS4_PiSB_SB_21rocsparse_index_base_20rocsparse_diag_type_20rocsparse_direction_b.uses_flat_scratch, 1
	.set _ZN9rocsparseL19bsrsv_upper_generalILj128ELj64ELb1E21rocsparse_complex_numIdEEEviNS_24const_host_device_scalarIT2_EEPKiS7_PKS4_iS9_PS4_PiSB_SB_21rocsparse_index_base_20rocsparse_diag_type_20rocsparse_direction_b.has_dyn_sized_stack, 0
	.set _ZN9rocsparseL19bsrsv_upper_generalILj128ELj64ELb1E21rocsparse_complex_numIdEEEviNS_24const_host_device_scalarIT2_EEPKiS7_PKS4_iS9_PS4_PiSB_SB_21rocsparse_index_base_20rocsparse_diag_type_20rocsparse_direction_b.has_recursion, 0
	.set _ZN9rocsparseL19bsrsv_upper_generalILj128ELj64ELb1E21rocsparse_complex_numIdEEEviNS_24const_host_device_scalarIT2_EEPKiS7_PKS4_iS9_PS4_PiSB_SB_21rocsparse_index_base_20rocsparse_diag_type_20rocsparse_direction_b.has_indirect_call, 0
	.section	.AMDGPU.csdata,"",@progbits
; Kernel info:
; codeLenInByte = 1952
; TotalNumSgprs: 45
; NumVgprs: 29
; ScratchSize: 16
; MemoryBound: 0
; FloatMode: 240
; IeeeMode: 1
; LDSByteSize: 0 bytes/workgroup (compile time only)
; SGPRBlocks: 5
; VGPRBlocks: 7
; NumSGPRsForWavesPerEU: 45
; NumVGPRsForWavesPerEU: 29
; Occupancy: 8
; WaveLimiterHint : 1
; COMPUTE_PGM_RSRC2:SCRATCH_EN: 1
; COMPUTE_PGM_RSRC2:USER_SGPR: 8
; COMPUTE_PGM_RSRC2:TRAP_HANDLER: 0
; COMPUTE_PGM_RSRC2:TGID_X_EN: 1
; COMPUTE_PGM_RSRC2:TGID_Y_EN: 0
; COMPUTE_PGM_RSRC2:TGID_Z_EN: 0
; COMPUTE_PGM_RSRC2:TIDIG_COMP_CNT: 0
	.section	.text._ZN9rocsparseL19bsrsv_upper_generalILj128ELj64ELb0E21rocsparse_complex_numIdEEEviNS_24const_host_device_scalarIT2_EEPKiS7_PKS4_iS9_PS4_PiSB_SB_21rocsparse_index_base_20rocsparse_diag_type_20rocsparse_direction_b,"axG",@progbits,_ZN9rocsparseL19bsrsv_upper_generalILj128ELj64ELb0E21rocsparse_complex_numIdEEEviNS_24const_host_device_scalarIT2_EEPKiS7_PKS4_iS9_PS4_PiSB_SB_21rocsparse_index_base_20rocsparse_diag_type_20rocsparse_direction_b,comdat
	.globl	_ZN9rocsparseL19bsrsv_upper_generalILj128ELj64ELb0E21rocsparse_complex_numIdEEEviNS_24const_host_device_scalarIT2_EEPKiS7_PKS4_iS9_PS4_PiSB_SB_21rocsparse_index_base_20rocsparse_diag_type_20rocsparse_direction_b ; -- Begin function _ZN9rocsparseL19bsrsv_upper_generalILj128ELj64ELb0E21rocsparse_complex_numIdEEEviNS_24const_host_device_scalarIT2_EEPKiS7_PKS4_iS9_PS4_PiSB_SB_21rocsparse_index_base_20rocsparse_diag_type_20rocsparse_direction_b
	.p2align	8
	.type	_ZN9rocsparseL19bsrsv_upper_generalILj128ELj64ELb0E21rocsparse_complex_numIdEEEviNS_24const_host_device_scalarIT2_EEPKiS7_PKS4_iS9_PS4_PiSB_SB_21rocsparse_index_base_20rocsparse_diag_type_20rocsparse_direction_b,@function
_ZN9rocsparseL19bsrsv_upper_generalILj128ELj64ELb0E21rocsparse_complex_numIdEEEviNS_24const_host_device_scalarIT2_EEPKiS7_PKS4_iS9_PS4_PiSB_SB_21rocsparse_index_base_20rocsparse_diag_type_20rocsparse_direction_b: ; @_ZN9rocsparseL19bsrsv_upper_generalILj128ELj64ELb0E21rocsparse_complex_numIdEEEviNS_24const_host_device_scalarIT2_EEPKiS7_PKS4_iS9_PS4_PiSB_SB_21rocsparse_index_base_20rocsparse_diag_type_20rocsparse_direction_b
; %bb.0:
	s_add_u32 flat_scratch_lo, s6, s9
	s_load_dwordx4 s[16:19], s[4:5], 0x60
	s_load_dwordx4 s[12:15], s[4:5], 0x8
	s_addc_u32 flat_scratch_hi, s7, 0
	s_add_u32 s0, s0, s9
	s_addc_u32 s1, s1, 0
	s_waitcnt lgkmcnt(0)
	s_bitcmp1_b32 s19, 0
	s_cselect_b64 s[10:11], -1, 0
	s_mov_b64 s[6:7], src_private_base
	v_mov_b32_e32 v1, s13
	s_and_b64 vcc, s[10:11], exec
	buffer_store_dword v1, off, s[0:3], 0 offset:4
	v_mov_b32_e32 v1, s12
	s_cselect_b32 s6, s7, s13
	s_cselect_b32 s7, 0, s12
	buffer_store_dword v1, off, s[0:3], 0
	v_mov_b32_e32 v1, s7
	v_mov_b32_e32 v2, s6
	flat_load_dwordx2 v[1:2], v[1:2]
	v_mov_b32_e32 v3, s14
	v_mov_b32_e32 v4, s15
	s_cbranch_vccnz .LBB87_2
; %bb.1:
	v_mov_b32_e32 v3, s12
	v_mov_b32_e32 v4, s13
	flat_load_dwordx2 v[3:4], v[3:4] offset:8
.LBB87_2:
	s_load_dword s19, s[4:5], 0x0
	s_lshl_b32 s6, s8, 1
	v_lshrrev_b32_e32 v5, 6, v0
	s_and_b32 s6, s6, 0x3fffffe
	v_or_b32_e32 v5, s6, v5
	s_waitcnt lgkmcnt(0)
	v_cmp_gt_i32_e32 vcc, s19, v5
	s_and_saveexec_b64 s[6:7], vcc
	s_cbranch_execz .LBB87_45
; %bb.3:
	s_load_dwordx8 s[8:15], s[4:5], 0x40
	v_lshlrev_b32_e32 v5, 2, v5
	s_load_dword s33, s[4:5], 0x30
	v_and_b32_e32 v11, 63, v0
	s_waitcnt lgkmcnt(0)
	global_load_dword v8, v5, s[12:13]
	s_load_dwordx4 s[20:23], s[4:5], 0x18
	s_load_dwordx2 s[12:13], s[4:5], 0x28
	v_cmp_gt_i32_e64 s[6:7], s33, v11
	s_waitcnt lgkmcnt(0)
	v_mov_b32_e32 v6, s21
	s_waitcnt vmcnt(0)
	v_ashrrev_i32_e32 v9, 31, v8
	v_lshlrev_b64 v[9:10], 2, v[8:9]
	v_add_co_u32_e32 v5, vcc, s20, v9
	v_addc_co_u32_e32 v6, vcc, v6, v10, vcc
	global_load_dwordx2 v[5:6], v[5:6], off
	s_and_saveexec_b64 s[20:21], s[6:7]
	s_cbranch_execz .LBB87_6
; %bb.4:
	v_mad_u64_u32 v[12:13], s[24:25], v8, s33, v[11:12]
	s_load_dwordx2 s[4:5], s[4:5], 0x38
	v_ashrrev_i32_e32 v13, 31, v12
	v_lshlrev_b64 v[14:15], 4, v[12:13]
	s_waitcnt lgkmcnt(0)
	v_mov_b32_e32 v0, s5
	v_or_b32_e32 v7, 8, v14
	v_add_co_u32_e32 v12, vcc, s4, v7
	v_addc_co_u32_e32 v13, vcc, v0, v15, vcc
	v_mov_b32_e32 v0, s9
	v_add_co_u32_e32 v14, vcc, s8, v7
	v_addc_co_u32_e32 v15, vcc, v0, v15, vcc
	s_mov_b64 s[4:5], 0
	v_mov_b32_e32 v0, v11
.LBB87_5:                               ; =>This Inner Loop Header: Depth=1
	global_load_dwordx4 v[16:19], v[12:13], off offset:-8
	v_add_co_u32_e32 v12, vcc, 0x400, v12
	v_add_u32_e32 v0, 64, v0
	v_addc_co_u32_e32 v13, vcc, 0, v13, vcc
	v_cmp_le_i32_e32 vcc, s33, v0
	s_or_b64 s[4:5], vcc, s[4:5]
	s_waitcnt vmcnt(0)
	v_mul_f64 v[20:21], v[18:19], -v[3:4]
	v_mul_f64 v[22:23], v[1:2], v[18:19]
	v_fma_f64 v[18:19], v[1:2], v[16:17], v[20:21]
	v_fma_f64 v[20:21], v[3:4], v[16:17], v[22:23]
	global_store_dwordx4 v[14:15], v[18:21], off offset:-8
	v_add_co_u32_e32 v14, vcc, 0x400, v14
	v_addc_co_u32_e32 v15, vcc, 0, v15, vcc
	s_andn2_b64 exec, exec, s[4:5]
	s_cbranch_execnz .LBB87_5
.LBB87_6:
	s_or_b64 exec, exec, s[20:21]
	v_mul_lo_u32 v14, v8, s33
	s_waitcnt vmcnt(0)
	v_subrev_u32_e32 v7, s16, v5
	v_xad_u32 v0, s16, -1, v6
	v_cmp_ge_i32_e32 vcc, v0, v7
	v_mov_b32_e32 v1, s19
	s_and_saveexec_b64 s[4:5], vcc
	s_cbranch_execz .LBB87_24
; %bb.7:
	v_mad_u64_u32 v[1:2], s[20:21], s33, v0, v[11:12]
	s_cmp_lg_u32 s18, 0
	s_cselect_b64 s[20:21], -1, 0
	v_mul_lo_u32 v15, s33, v1
	s_mul_i32 s19, s33, s33
	s_lshl_b32 s38, s33, 6
	s_mov_b64 s[24:25], 0
	v_mov_b32_e32 v16, s23
                                        ; implicit-def: $sgpr26_sgpr27
	s_branch .LBB87_10
.LBB87_8:                               ;   in Loop: Header=BB87_10 Depth=1
	s_or_b64 exec, exec, s[30:31]
	v_cmp_le_i32_e32 vcc, v0, v7
	v_add_u32_e32 v2, -1, v0
	s_andn2_b64 s[26:27], s[26:27], exec
	s_and_b64 s[30:31], vcc, exec
	v_subrev_u32_e32 v15, s19, v15
	s_or_b64 s[26:27], s[26:27], s[30:31]
	v_mov_b32_e32 v0, v2
.LBB87_9:                               ;   in Loop: Header=BB87_10 Depth=1
	s_or_b64 exec, exec, s[28:29]
	s_and_b64 s[28:29], exec, s[26:27]
	s_or_b64 s[24:25], s[28:29], s[24:25]
	s_andn2_b64 exec, exec, s[24:25]
	s_cbranch_execz .LBB87_23
.LBB87_10:                              ; =>This Loop Header: Depth=1
                                        ;     Child Loop BB87_13 Depth 2
                                        ;     Child Loop BB87_17 Depth 2
                                        ;       Child Loop BB87_19 Depth 3
	v_ashrrev_i32_e32 v1, 31, v0
	v_lshlrev_b64 v[1:2], 2, v[0:1]
	s_or_b64 s[26:27], s[26:27], exec
	v_add_co_u32_e32 v1, vcc, s22, v1
	v_addc_co_u32_e32 v2, vcc, v16, v2, vcc
	global_load_dword v1, v[1:2], off
	s_waitcnt vmcnt(0)
	v_subrev_u32_e32 v1, s16, v1
	v_cmp_gt_i32_e32 vcc, v1, v8
	s_and_saveexec_b64 s[28:29], vcc
	s_cbranch_execz .LBB87_9
; %bb.11:                               ;   in Loop: Header=BB87_10 Depth=1
	v_ashrrev_i32_e32 v2, 31, v1
	v_lshlrev_b64 v[2:3], 2, v[1:2]
	v_mov_b32_e32 v4, s11
	v_add_co_u32_e32 v2, vcc, s10, v2
	v_addc_co_u32_e32 v3, vcc, v4, v3, vcc
	global_load_dword v4, v[2:3], off glc
	s_waitcnt vmcnt(0)
	v_cmp_eq_u32_e32 vcc, 0, v4
	s_and_saveexec_b64 s[30:31], vcc
	s_cbranch_execz .LBB87_14
; %bb.12:                               ;   in Loop: Header=BB87_10 Depth=1
	s_mov_b64 s[34:35], 0
.LBB87_13:                              ;   Parent Loop BB87_10 Depth=1
                                        ; =>  This Inner Loop Header: Depth=2
	global_load_dword v4, v[2:3], off glc
	s_waitcnt vmcnt(0)
	v_cmp_ne_u32_e32 vcc, 0, v4
	s_or_b64 s[34:35], vcc, s[34:35]
	s_andn2_b64 exec, exec, s[34:35]
	s_cbranch_execnz .LBB87_13
.LBB87_14:                              ;   in Loop: Header=BB87_10 Depth=1
	s_or_b64 exec, exec, s[30:31]
	buffer_wbinvl1_vol
	s_and_saveexec_b64 s[30:31], s[6:7]
	s_cbranch_execz .LBB87_8
; %bb.15:                               ;   in Loop: Header=BB87_10 Depth=1
	v_mul_lo_u32 v17, v0, s33
	v_mul_lo_u32 v18, v1, s33
	s_mov_b64 s[34:35], 0
	v_mov_b32_e32 v19, v15
	v_mov_b32_e32 v2, v11
	s_branch .LBB87_17
.LBB87_16:                              ;   in Loop: Header=BB87_17 Depth=2
	v_add_u32_e32 v12, v2, v14
	v_ashrrev_i32_e32 v13, 31, v12
	v_lshlrev_b64 v[12:13], 4, v[12:13]
	v_mov_b32_e32 v20, s9
	v_add_co_u32_e32 v12, vcc, s8, v12
	v_addc_co_u32_e32 v13, vcc, v20, v13, vcc
	global_load_dwordx4 v[20:23], v[12:13], off
	v_add_u32_e32 v2, 64, v2
	v_cmp_le_i32_e32 vcc, s33, v2
	s_or_b64 s[34:35], vcc, s[34:35]
	v_add_u32_e32 v19, s38, v19
	s_waitcnt vmcnt(0)
	v_add_f64 v[20:21], v[20:21], -v[5:6]
	v_add_f64 v[22:23], v[22:23], -v[3:4]
	global_store_dwordx4 v[12:13], v[20:23], off
	s_andn2_b64 exec, exec, s[34:35]
	s_cbranch_execz .LBB87_8
.LBB87_17:                              ;   Parent Loop BB87_10 Depth=1
                                        ; =>  This Loop Header: Depth=2
                                        ;       Child Loop BB87_19 Depth 3
	v_mov_b32_e32 v3, 0
	v_mov_b32_e32 v5, 0
	;; [unrolled: 1-line block ×4, first 2 shown]
	s_mov_b32 s23, 0
	s_branch .LBB87_19
.LBB87_18:                              ;   in Loop: Header=BB87_19 Depth=3
	v_ashrrev_i32_e32 v13, 31, v12
	v_lshlrev_b64 v[12:13], 4, v[12:13]
	v_mov_b32_e32 v20, s13
	v_add_co_u32_e32 v12, vcc, s12, v12
	v_addc_co_u32_e32 v13, vcc, v20, v13, vcc
	global_load_dwordx4 v[20:23], v[12:13], off
	v_add_u32_e32 v12, s23, v18
	v_ashrrev_i32_e32 v13, 31, v12
	v_lshlrev_b64 v[12:13], 4, v[12:13]
	v_mov_b32_e32 v24, s9
	v_add_co_u32_e32 v12, vcc, s8, v12
	v_addc_co_u32_e32 v13, vcc, v24, v13, vcc
	global_load_dwordx4 v[24:27], v[12:13], off
	s_add_i32 s23, s23, 1
	s_cmp_eq_u32 s33, s23
	s_waitcnt vmcnt(0)
	v_fma_f64 v[5:6], v[20:21], v[24:25], v[5:6]
	v_fma_f64 v[3:4], v[22:23], v[24:25], v[3:4]
	v_fma_f64 v[5:6], -v[22:23], v[26:27], v[5:6]
	v_fma_f64 v[3:4], v[20:21], v[26:27], v[3:4]
	s_cbranch_scc1 .LBB87_16
.LBB87_19:                              ;   Parent Loop BB87_10 Depth=1
                                        ;     Parent Loop BB87_17 Depth=2
                                        ; =>    This Inner Loop Header: Depth=3
	s_and_b64 vcc, exec, s[20:21]
	s_cbranch_vccz .LBB87_21
; %bb.20:                               ;   in Loop: Header=BB87_19 Depth=3
	v_add_u32_e32 v12, s23, v17
	v_mad_u64_u32 v[12:13], s[36:37], v12, s33, v[2:3]
	s_cbranch_execnz .LBB87_18
	s_branch .LBB87_22
.LBB87_21:                              ;   in Loop: Header=BB87_19 Depth=3
                                        ; implicit-def: $vgpr12
.LBB87_22:                              ;   in Loop: Header=BB87_19 Depth=3
	v_add_u32_e32 v12, s23, v19
	s_branch .LBB87_18
.LBB87_23:
	s_or_b64 exec, exec, s[24:25]
.LBB87_24:
	s_or_b64 exec, exec, s[4:5]
	s_cmp_gt_i32 s33, 0
	v_cmp_eq_u32_e32 vcc, v1, v8
	s_cselect_b64 s[4:5], -1, 0
	s_and_b64 s[6:7], s[4:5], vcc
	s_mov_b64 s[4:5], 0
	s_and_saveexec_b64 s[20:21], s[6:7]
	s_cbranch_execz .LBB87_39
; %bb.25:
	v_mul_lo_u32 v15, v0, s33
	s_cmp_eq_u32 s17, 0
	s_cselect_b64 s[4:5], -1, 0
	s_cmp_lg_u32 s18, 0
	v_add_u32_e32 v0, v15, v11
	v_mul_lo_u32 v0, s33, v0
	v_ashrrev_i32_e32 v16, 31, v14
	s_cselect_b64 s[18:19], -1, 0
	s_lshl_b32 s17, s33, 6
	v_add3_u32 v17, v0, s33, -1
	v_cndmask_b32_e64 v0, 0, 1, s[4:5]
	s_mov_b64 s[24:25], 0
	v_cmp_ne_u32_e64 s[4:5], 1, v0
	v_mov_b32_e32 v18, s9
                                        ; implicit-def: $sgpr22_sgpr23
	s_mov_b32 s26, s33
	s_and_b64 vcc, exec, s[4:5]
	s_add_i32 s27, s26, -1
	s_cbranch_vccz .LBB87_27
.LBB87_26:
	v_mov_b32_e32 v6, 0
	v_mov_b32_e32 v4, 0
	;; [unrolled: 1-line block ×4, first 2 shown]
	s_branch .LBB87_28
.LBB87_27:
	s_waitcnt vmcnt(0)
	v_add_u32_e32 v0, s27, v15
	v_mul_lo_u32 v0, v0, s33
	v_mov_b32_e32 v2, s13
	v_add_u32_e32 v0, s27, v0
	v_ashrrev_i32_e32 v1, 31, v0
	v_lshlrev_b64 v[0:1], 4, v[0:1]
	v_add_co_u32_e32 v0, vcc, s12, v0
	v_addc_co_u32_e32 v1, vcc, v2, v1, vcc
	global_load_dwordx4 v[4:7], v[0:1], off
.LBB87_28:
	s_ashr_i32 s6, s26, 31
	s_waitcnt vmcnt(0)
	v_mov_b32_e32 v1, s6
	v_add_co_u32_e32 v0, vcc, s26, v14
	v_addc_co_u32_e32 v1, vcc, v1, v16, vcc
	v_lshlrev_b64 v[0:1], 4, v[0:1]
	s_waitcnt vmcnt(0)
	v_cmp_neq_f64_e64 s[6:7], 0, v[6:7]
	v_add_co_u32_e32 v12, vcc, s8, v0
	v_addc_co_u32_e32 v13, vcc, v18, v1, vcc
	global_load_dwordx4 v[0:3], v[12:13], off offset:-16
	v_cmp_neq_f64_e32 vcc, 0, v[4:5]
	s_or_b64 s[22:23], s[22:23], exec
	s_or_b64 s[28:29], vcc, s[6:7]
	s_and_saveexec_b64 s[6:7], s[28:29]
	s_cbranch_execz .LBB87_30
; %bb.29:
	v_mul_f64 v[19:20], v[6:7], v[6:7]
	s_andn2_b64 s[22:23], s[22:23], exec
	s_and_b64 s[24:25], s[24:25], exec
	s_or_b64 s[22:23], s[22:23], s[24:25]
	v_fma_f64 v[19:20], v[4:5], v[4:5], v[19:20]
	v_div_scale_f64 v[21:22], s[28:29], v[19:20], v[19:20], 1.0
	v_rcp_f64_e32 v[23:24], v[21:22]
	v_fma_f64 v[25:26], -v[21:22], v[23:24], 1.0
	v_fma_f64 v[23:24], v[23:24], v[25:26], v[23:24]
	v_div_scale_f64 v[25:26], vcc, 1.0, v[19:20], 1.0
	v_fma_f64 v[27:28], -v[21:22], v[23:24], 1.0
	v_fma_f64 v[23:24], v[23:24], v[27:28], v[23:24]
	v_mul_f64 v[27:28], v[25:26], v[23:24]
	v_fma_f64 v[21:22], -v[21:22], v[27:28], v[25:26]
	v_div_fmas_f64 v[21:22], v[21:22], v[23:24], v[27:28]
	s_waitcnt vmcnt(0)
	v_mul_f64 v[23:24], v[6:7], v[2:3]
	v_mul_f64 v[6:7], v[6:7], -v[0:1]
	v_fma_f64 v[0:1], v[0:1], v[4:5], v[23:24]
	v_fma_f64 v[2:3], v[2:3], v[4:5], v[6:7]
	v_div_fixup_f64 v[19:20], v[21:22], v[19:20], 1.0
	v_mul_f64 v[0:1], v[19:20], v[0:1]
	v_mul_f64 v[2:3], v[19:20], v[2:3]
	global_store_dwordx4 v[12:13], v[0:3], off offset:-16
.LBB87_30:
	s_or_b64 exec, exec, s[6:7]
	v_cmp_gt_i32_e32 vcc, s27, v11
	s_and_saveexec_b64 s[6:7], vcc
	s_cbranch_execz .LBB87_35
; %bb.31:
	v_add_u32_e32 v4, s27, v15
	v_mul_lo_u32 v6, v4, s33
	s_mov_b64 s[24:25], 0
	v_mov_b32_e32 v7, v17
	v_mov_b32_e32 v12, v11
	s_branch .LBB87_33
.LBB87_32:                              ;   in Loop: Header=BB87_33 Depth=1
	v_ashrrev_i32_e32 v5, 31, v4
	v_lshlrev_b64 v[4:5], 4, v[4:5]
	v_mov_b32_e32 v13, s13
	v_add_co_u32_e32 v4, vcc, s12, v4
	v_addc_co_u32_e32 v5, vcc, v13, v5, vcc
	global_load_dwordx4 v[19:22], v[4:5], off
	v_add_u32_e32 v4, v14, v12
	v_ashrrev_i32_e32 v5, 31, v4
	v_lshlrev_b64 v[4:5], 4, v[4:5]
	v_mov_b32_e32 v13, s9
	v_add_co_u32_e32 v4, vcc, s8, v4
	v_addc_co_u32_e32 v5, vcc, v13, v5, vcc
	global_load_dwordx4 v[23:26], v[4:5], off
	v_add_u32_e32 v12, 64, v12
	v_cmp_le_i32_e32 vcc, s27, v12
	s_or_b64 s[24:25], vcc, s[24:25]
	v_add_u32_e32 v7, s17, v7
	s_waitcnt vmcnt(1)
	v_mul_f64 v[27:28], v[21:22], -v[2:3]
	v_mul_f64 v[21:22], v[0:1], v[21:22]
	v_fma_f64 v[27:28], v[0:1], v[19:20], v[27:28]
	v_fma_f64 v[21:22], v[2:3], v[19:20], v[21:22]
	s_waitcnt vmcnt(0)
	v_add_f64 v[19:20], v[23:24], -v[27:28]
	v_add_f64 v[21:22], v[25:26], -v[21:22]
	global_store_dwordx4 v[4:5], v[19:22], off
	s_andn2_b64 exec, exec, s[24:25]
	s_cbranch_execz .LBB87_35
.LBB87_33:                              ; =>This Inner Loop Header: Depth=1
	s_andn2_b64 vcc, exec, s[18:19]
	v_mov_b32_e32 v4, v7
	s_cbranch_vccnz .LBB87_32
; %bb.34:                               ;   in Loop: Header=BB87_33 Depth=1
	v_add_u32_e32 v4, v12, v6
	s_branch .LBB87_32
.LBB87_35:
	s_or_b64 exec, exec, s[6:7]
; %bb.36:
	s_cmp_lt_i32 s26, 2
	v_add_u32_e32 v17, -1, v17
	s_cbranch_scc1 .LBB87_38
; %bb.37:
	s_mov_b64 s[24:25], s[22:23]
	s_mov_b32 s26, s27
	s_and_b64 vcc, exec, s[4:5]
	s_add_i32 s27, s26, -1
	s_cbranch_vccnz .LBB87_26
	s_branch .LBB87_27
.LBB87_38:
	s_and_b64 s[4:5], s[22:23], exec
.LBB87_39:
	s_or_b64 exec, exec, s[20:21]
	v_cmp_eq_u32_e32 vcc, 0, v11
	s_and_b64 exec, exec, vcc
	s_cbranch_execz .LBB87_45
; %bb.40:
	s_waitcnt vmcnt(0)
	v_mov_b32_e32 v1, s11
	v_add_co_u32_e32 v0, vcc, s10, v9
	v_addc_co_u32_e32 v1, vcc, v1, v10, vcc
	v_mov_b32_e32 v2, 1
	global_store_dword v[0:1], v2, off
	s_and_b64 exec, exec, s[4:5]
	s_cbranch_execz .LBB87_45
; %bb.41:
	s_mov_b64 s[4:5], exec
	v_add_u32_e32 v0, s16, v8
	s_brev_b32 s6, -2
.LBB87_42:                              ; =>This Inner Loop Header: Depth=1
	s_ff1_i32_b64 s7, s[4:5]
	v_readlane_b32 s10, v0, s7
	s_lshl_b64 s[8:9], 1, s7
	s_min_i32 s6, s6, s10
	s_andn2_b64 s[4:5], s[4:5], s[8:9]
	s_cmp_lg_u64 s[4:5], 0
	s_cbranch_scc1 .LBB87_42
; %bb.43:
	v_mbcnt_lo_u32_b32 v0, exec_lo, 0
	v_mbcnt_hi_u32_b32 v0, exec_hi, v0
	v_cmp_eq_u32_e32 vcc, 0, v0
	s_and_saveexec_b64 s[4:5], vcc
	s_xor_b64 s[4:5], exec, s[4:5]
	s_cbranch_execz .LBB87_45
; %bb.44:
	v_mov_b32_e32 v0, 0
	v_mov_b32_e32 v1, s6
	global_atomic_smin v0, v1, s[14:15]
.LBB87_45:
	s_endpgm
	.section	.rodata,"a",@progbits
	.p2align	6, 0x0
	.amdhsa_kernel _ZN9rocsparseL19bsrsv_upper_generalILj128ELj64ELb0E21rocsparse_complex_numIdEEEviNS_24const_host_device_scalarIT2_EEPKiS7_PKS4_iS9_PS4_PiSB_SB_21rocsparse_index_base_20rocsparse_diag_type_20rocsparse_direction_b
		.amdhsa_group_segment_fixed_size 0
		.amdhsa_private_segment_fixed_size 16
		.amdhsa_kernarg_size 112
		.amdhsa_user_sgpr_count 8
		.amdhsa_user_sgpr_private_segment_buffer 1
		.amdhsa_user_sgpr_dispatch_ptr 0
		.amdhsa_user_sgpr_queue_ptr 0
		.amdhsa_user_sgpr_kernarg_segment_ptr 1
		.amdhsa_user_sgpr_dispatch_id 0
		.amdhsa_user_sgpr_flat_scratch_init 1
		.amdhsa_user_sgpr_private_segment_size 0
		.amdhsa_uses_dynamic_stack 0
		.amdhsa_system_sgpr_private_segment_wavefront_offset 1
		.amdhsa_system_sgpr_workgroup_id_x 1
		.amdhsa_system_sgpr_workgroup_id_y 0
		.amdhsa_system_sgpr_workgroup_id_z 0
		.amdhsa_system_sgpr_workgroup_info 0
		.amdhsa_system_vgpr_workitem_id 0
		.amdhsa_next_free_vgpr 29
		.amdhsa_next_free_sgpr 39
		.amdhsa_reserve_vcc 1
		.amdhsa_reserve_flat_scratch 1
		.amdhsa_float_round_mode_32 0
		.amdhsa_float_round_mode_16_64 0
		.amdhsa_float_denorm_mode_32 3
		.amdhsa_float_denorm_mode_16_64 3
		.amdhsa_dx10_clamp 1
		.amdhsa_ieee_mode 1
		.amdhsa_fp16_overflow 0
		.amdhsa_exception_fp_ieee_invalid_op 0
		.amdhsa_exception_fp_denorm_src 0
		.amdhsa_exception_fp_ieee_div_zero 0
		.amdhsa_exception_fp_ieee_overflow 0
		.amdhsa_exception_fp_ieee_underflow 0
		.amdhsa_exception_fp_ieee_inexact 0
		.amdhsa_exception_int_div_zero 0
	.end_amdhsa_kernel
	.section	.text._ZN9rocsparseL19bsrsv_upper_generalILj128ELj64ELb0E21rocsparse_complex_numIdEEEviNS_24const_host_device_scalarIT2_EEPKiS7_PKS4_iS9_PS4_PiSB_SB_21rocsparse_index_base_20rocsparse_diag_type_20rocsparse_direction_b,"axG",@progbits,_ZN9rocsparseL19bsrsv_upper_generalILj128ELj64ELb0E21rocsparse_complex_numIdEEEviNS_24const_host_device_scalarIT2_EEPKiS7_PKS4_iS9_PS4_PiSB_SB_21rocsparse_index_base_20rocsparse_diag_type_20rocsparse_direction_b,comdat
.Lfunc_end87:
	.size	_ZN9rocsparseL19bsrsv_upper_generalILj128ELj64ELb0E21rocsparse_complex_numIdEEEviNS_24const_host_device_scalarIT2_EEPKiS7_PKS4_iS9_PS4_PiSB_SB_21rocsparse_index_base_20rocsparse_diag_type_20rocsparse_direction_b, .Lfunc_end87-_ZN9rocsparseL19bsrsv_upper_generalILj128ELj64ELb0E21rocsparse_complex_numIdEEEviNS_24const_host_device_scalarIT2_EEPKiS7_PKS4_iS9_PS4_PiSB_SB_21rocsparse_index_base_20rocsparse_diag_type_20rocsparse_direction_b
                                        ; -- End function
	.set _ZN9rocsparseL19bsrsv_upper_generalILj128ELj64ELb0E21rocsparse_complex_numIdEEEviNS_24const_host_device_scalarIT2_EEPKiS7_PKS4_iS9_PS4_PiSB_SB_21rocsparse_index_base_20rocsparse_diag_type_20rocsparse_direction_b.num_vgpr, 29
	.set _ZN9rocsparseL19bsrsv_upper_generalILj128ELj64ELb0E21rocsparse_complex_numIdEEEviNS_24const_host_device_scalarIT2_EEPKiS7_PKS4_iS9_PS4_PiSB_SB_21rocsparse_index_base_20rocsparse_diag_type_20rocsparse_direction_b.num_agpr, 0
	.set _ZN9rocsparseL19bsrsv_upper_generalILj128ELj64ELb0E21rocsparse_complex_numIdEEEviNS_24const_host_device_scalarIT2_EEPKiS7_PKS4_iS9_PS4_PiSB_SB_21rocsparse_index_base_20rocsparse_diag_type_20rocsparse_direction_b.numbered_sgpr, 39
	.set _ZN9rocsparseL19bsrsv_upper_generalILj128ELj64ELb0E21rocsparse_complex_numIdEEEviNS_24const_host_device_scalarIT2_EEPKiS7_PKS4_iS9_PS4_PiSB_SB_21rocsparse_index_base_20rocsparse_diag_type_20rocsparse_direction_b.num_named_barrier, 0
	.set _ZN9rocsparseL19bsrsv_upper_generalILj128ELj64ELb0E21rocsparse_complex_numIdEEEviNS_24const_host_device_scalarIT2_EEPKiS7_PKS4_iS9_PS4_PiSB_SB_21rocsparse_index_base_20rocsparse_diag_type_20rocsparse_direction_b.private_seg_size, 16
	.set _ZN9rocsparseL19bsrsv_upper_generalILj128ELj64ELb0E21rocsparse_complex_numIdEEEviNS_24const_host_device_scalarIT2_EEPKiS7_PKS4_iS9_PS4_PiSB_SB_21rocsparse_index_base_20rocsparse_diag_type_20rocsparse_direction_b.uses_vcc, 1
	.set _ZN9rocsparseL19bsrsv_upper_generalILj128ELj64ELb0E21rocsparse_complex_numIdEEEviNS_24const_host_device_scalarIT2_EEPKiS7_PKS4_iS9_PS4_PiSB_SB_21rocsparse_index_base_20rocsparse_diag_type_20rocsparse_direction_b.uses_flat_scratch, 1
	.set _ZN9rocsparseL19bsrsv_upper_generalILj128ELj64ELb0E21rocsparse_complex_numIdEEEviNS_24const_host_device_scalarIT2_EEPKiS7_PKS4_iS9_PS4_PiSB_SB_21rocsparse_index_base_20rocsparse_diag_type_20rocsparse_direction_b.has_dyn_sized_stack, 0
	.set _ZN9rocsparseL19bsrsv_upper_generalILj128ELj64ELb0E21rocsparse_complex_numIdEEEviNS_24const_host_device_scalarIT2_EEPKiS7_PKS4_iS9_PS4_PiSB_SB_21rocsparse_index_base_20rocsparse_diag_type_20rocsparse_direction_b.has_recursion, 0
	.set _ZN9rocsparseL19bsrsv_upper_generalILj128ELj64ELb0E21rocsparse_complex_numIdEEEviNS_24const_host_device_scalarIT2_EEPKiS7_PKS4_iS9_PS4_PiSB_SB_21rocsparse_index_base_20rocsparse_diag_type_20rocsparse_direction_b.has_indirect_call, 0
	.section	.AMDGPU.csdata,"",@progbits
; Kernel info:
; codeLenInByte = 1896
; TotalNumSgprs: 45
; NumVgprs: 29
; ScratchSize: 16
; MemoryBound: 0
; FloatMode: 240
; IeeeMode: 1
; LDSByteSize: 0 bytes/workgroup (compile time only)
; SGPRBlocks: 5
; VGPRBlocks: 7
; NumSGPRsForWavesPerEU: 45
; NumVGPRsForWavesPerEU: 29
; Occupancy: 8
; WaveLimiterHint : 1
; COMPUTE_PGM_RSRC2:SCRATCH_EN: 1
; COMPUTE_PGM_RSRC2:USER_SGPR: 8
; COMPUTE_PGM_RSRC2:TRAP_HANDLER: 0
; COMPUTE_PGM_RSRC2:TGID_X_EN: 1
; COMPUTE_PGM_RSRC2:TGID_Y_EN: 0
; COMPUTE_PGM_RSRC2:TGID_Z_EN: 0
; COMPUTE_PGM_RSRC2:TIDIG_COMP_CNT: 0
	.section	.text._ZN9rocsparseL19bsrsv_lower_generalILj128ELj32ELb1E21rocsparse_complex_numIdEEEviNS_24const_host_device_scalarIT2_EEPKiS7_PKS4_iS9_PS4_PiSB_SB_21rocsparse_index_base_20rocsparse_diag_type_20rocsparse_direction_b,"axG",@progbits,_ZN9rocsparseL19bsrsv_lower_generalILj128ELj32ELb1E21rocsparse_complex_numIdEEEviNS_24const_host_device_scalarIT2_EEPKiS7_PKS4_iS9_PS4_PiSB_SB_21rocsparse_index_base_20rocsparse_diag_type_20rocsparse_direction_b,comdat
	.globl	_ZN9rocsparseL19bsrsv_lower_generalILj128ELj32ELb1E21rocsparse_complex_numIdEEEviNS_24const_host_device_scalarIT2_EEPKiS7_PKS4_iS9_PS4_PiSB_SB_21rocsparse_index_base_20rocsparse_diag_type_20rocsparse_direction_b ; -- Begin function _ZN9rocsparseL19bsrsv_lower_generalILj128ELj32ELb1E21rocsparse_complex_numIdEEEviNS_24const_host_device_scalarIT2_EEPKiS7_PKS4_iS9_PS4_PiSB_SB_21rocsparse_index_base_20rocsparse_diag_type_20rocsparse_direction_b
	.p2align	8
	.type	_ZN9rocsparseL19bsrsv_lower_generalILj128ELj32ELb1E21rocsparse_complex_numIdEEEviNS_24const_host_device_scalarIT2_EEPKiS7_PKS4_iS9_PS4_PiSB_SB_21rocsparse_index_base_20rocsparse_diag_type_20rocsparse_direction_b,@function
_ZN9rocsparseL19bsrsv_lower_generalILj128ELj32ELb1E21rocsparse_complex_numIdEEEviNS_24const_host_device_scalarIT2_EEPKiS7_PKS4_iS9_PS4_PiSB_SB_21rocsparse_index_base_20rocsparse_diag_type_20rocsparse_direction_b: ; @_ZN9rocsparseL19bsrsv_lower_generalILj128ELj32ELb1E21rocsparse_complex_numIdEEEviNS_24const_host_device_scalarIT2_EEPKiS7_PKS4_iS9_PS4_PiSB_SB_21rocsparse_index_base_20rocsparse_diag_type_20rocsparse_direction_b
; %bb.0:
	s_add_u32 flat_scratch_lo, s6, s9
	s_load_dwordx4 s[16:19], s[4:5], 0x60
	s_load_dwordx4 s[12:15], s[4:5], 0x8
	s_addc_u32 flat_scratch_hi, s7, 0
	s_add_u32 s0, s0, s9
	s_addc_u32 s1, s1, 0
	s_waitcnt lgkmcnt(0)
	s_bitcmp1_b32 s19, 0
	s_cselect_b64 s[10:11], -1, 0
	s_mov_b64 s[6:7], src_private_base
	v_mov_b32_e32 v1, s13
	s_and_b64 vcc, s[10:11], exec
	buffer_store_dword v1, off, s[0:3], 0 offset:4
	v_mov_b32_e32 v1, s12
	s_cselect_b32 s6, s7, s13
	s_cselect_b32 s7, 0, s12
	buffer_store_dword v1, off, s[0:3], 0
	v_mov_b32_e32 v1, s7
	v_mov_b32_e32 v2, s6
	flat_load_dwordx2 v[1:2], v[1:2]
	v_mov_b32_e32 v3, s14
	v_mov_b32_e32 v4, s15
	s_cbranch_vccnz .LBB88_2
; %bb.1:
	v_mov_b32_e32 v3, s12
	v_mov_b32_e32 v4, s13
	flat_load_dwordx2 v[3:4], v[3:4] offset:8
.LBB88_2:
	s_load_dword s19, s[4:5], 0x0
	s_lshl_b32 s6, s8, 2
	v_lshrrev_b32_e32 v5, 5, v0
	s_and_b32 s6, s6, 0x7fffffc
	v_or_b32_e32 v5, s6, v5
	s_waitcnt lgkmcnt(0)
	v_cmp_gt_i32_e32 vcc, s19, v5
	s_and_saveexec_b64 s[6:7], vcc
	s_cbranch_execz .LBB88_46
; %bb.3:
	s_load_dwordx8 s[8:15], s[4:5], 0x40
	v_lshlrev_b32_e32 v5, 2, v5
	s_load_dword s33, s[4:5], 0x30
	v_and_b32_e32 v11, 31, v0
	s_waitcnt lgkmcnt(0)
	global_load_dword v8, v5, s[12:13]
	s_load_dwordx4 s[20:23], s[4:5], 0x18
	s_load_dwordx2 s[12:13], s[4:5], 0x28
	v_cmp_gt_i32_e64 s[6:7], s33, v11
	s_waitcnt lgkmcnt(0)
	v_mov_b32_e32 v6, s21
	s_waitcnt vmcnt(0)
	v_ashrrev_i32_e32 v9, 31, v8
	v_lshlrev_b64 v[9:10], 2, v[8:9]
	v_add_co_u32_e32 v5, vcc, s20, v9
	v_addc_co_u32_e32 v6, vcc, v6, v10, vcc
	global_load_dwordx2 v[5:6], v[5:6], off
	s_and_saveexec_b64 s[20:21], s[6:7]
	s_cbranch_execz .LBB88_6
; %bb.4:
	v_mad_u64_u32 v[12:13], s[24:25], v8, s33, v[11:12]
	s_load_dwordx2 s[4:5], s[4:5], 0x38
	v_ashrrev_i32_e32 v13, 31, v12
	v_lshlrev_b64 v[14:15], 4, v[12:13]
	s_waitcnt lgkmcnt(0)
	v_mov_b32_e32 v0, s5
	v_or_b32_e32 v7, 8, v14
	v_add_co_u32_e32 v12, vcc, s4, v7
	v_addc_co_u32_e32 v13, vcc, v0, v15, vcc
	v_mov_b32_e32 v0, s9
	v_add_co_u32_e32 v14, vcc, s8, v7
	v_addc_co_u32_e32 v15, vcc, v0, v15, vcc
	s_mov_b64 s[4:5], 0
	v_mov_b32_e32 v0, v11
.LBB88_5:                               ; =>This Inner Loop Header: Depth=1
	global_load_dwordx4 v[16:19], v[12:13], off offset:-8
	v_add_co_u32_e32 v12, vcc, 0x200, v12
	v_add_u32_e32 v0, 32, v0
	v_addc_co_u32_e32 v13, vcc, 0, v13, vcc
	v_cmp_le_i32_e32 vcc, s33, v0
	s_or_b64 s[4:5], vcc, s[4:5]
	s_waitcnt vmcnt(0)
	v_mul_f64 v[20:21], v[18:19], -v[3:4]
	v_mul_f64 v[22:23], v[1:2], v[18:19]
	v_fma_f64 v[18:19], v[1:2], v[16:17], v[20:21]
	v_fma_f64 v[20:21], v[3:4], v[16:17], v[22:23]
	global_store_dwordx4 v[14:15], v[18:21], off offset:-8
	v_add_co_u32_e32 v14, vcc, 0x200, v14
	v_addc_co_u32_e32 v15, vcc, 0, v15, vcc
	s_andn2_b64 exec, exec, s[4:5]
	s_cbranch_execnz .LBB88_5
.LBB88_6:
	s_or_b64 exec, exec, s[20:21]
	v_mul_lo_u32 v14, v8, s33
	s_waitcnt vmcnt(0)
	v_subrev_u32_e32 v0, s16, v5
	v_cmp_lt_i32_e32 vcc, v5, v6
	v_mov_b32_e32 v1, s19
	s_and_saveexec_b64 s[4:5], vcc
	s_cbranch_execz .LBB88_26
; %bb.7:
	v_mad_u64_u32 v[1:2], s[20:21], s33, v0, v[11:12]
	s_cmp_lg_u32 s18, 0
	v_subrev_u32_e32 v7, s16, v6
	v_mul_lo_u32 v15, s33, v1
	s_cselect_b64 s[20:21], -1, 0
	s_mul_i32 s19, s33, s33
	s_lshl_b32 s38, s33, 5
	s_mov_b64 s[24:25], 0
	v_mov_b32_e32 v16, s23
                                        ; implicit-def: $sgpr26_sgpr27
	s_branch .LBB88_10
.LBB88_8:                               ;   in Loop: Header=BB88_10 Depth=1
	s_or_b64 exec, exec, s[30:31]
	v_add_u32_e32 v0, 1, v0
	v_cmp_ge_i32_e32 vcc, v0, v7
	s_andn2_b64 s[26:27], s[26:27], exec
	s_and_b64 s[30:31], vcc, exec
	v_add_u32_e32 v15, s19, v15
	s_or_b64 s[26:27], s[26:27], s[30:31]
.LBB88_9:                               ;   in Loop: Header=BB88_10 Depth=1
	s_or_b64 exec, exec, s[28:29]
	s_and_b64 s[28:29], exec, s[26:27]
	s_or_b64 s[24:25], s[28:29], s[24:25]
	s_andn2_b64 exec, exec, s[24:25]
	s_cbranch_execz .LBB88_25
.LBB88_10:                              ; =>This Loop Header: Depth=1
                                        ;     Child Loop BB88_14 Depth 2
                                        ;       Child Loop BB88_15 Depth 3
                                        ;     Child Loop BB88_19 Depth 2
                                        ;       Child Loop BB88_21 Depth 3
	v_ashrrev_i32_e32 v1, 31, v0
	v_lshlrev_b64 v[1:2], 2, v[0:1]
	s_or_b64 s[26:27], s[26:27], exec
	v_add_co_u32_e32 v1, vcc, s22, v1
	v_addc_co_u32_e32 v2, vcc, v16, v2, vcc
	global_load_dword v1, v[1:2], off
	s_waitcnt vmcnt(0)
	v_subrev_u32_e32 v1, s16, v1
	v_cmp_lt_i32_e32 vcc, v1, v8
	s_and_saveexec_b64 s[28:29], vcc
	s_cbranch_execz .LBB88_9
; %bb.11:                               ;   in Loop: Header=BB88_10 Depth=1
	v_ashrrev_i32_e32 v2, 31, v1
	v_lshlrev_b64 v[2:3], 2, v[1:2]
	v_mov_b32_e32 v4, s11
	v_add_co_u32_e32 v2, vcc, s10, v2
	v_addc_co_u32_e32 v3, vcc, v4, v3, vcc
	global_load_dword v4, v[2:3], off glc
	s_waitcnt vmcnt(0)
	v_cmp_eq_u32_e32 vcc, 0, v4
	s_and_saveexec_b64 s[30:31], vcc
	s_cbranch_execz .LBB88_16
; %bb.12:                               ;   in Loop: Header=BB88_10 Depth=1
	s_mov_b32 s23, 0
	s_mov_b64 s[34:35], 0
	s_branch .LBB88_14
.LBB88_13:                              ;   in Loop: Header=BB88_14 Depth=2
	global_load_dword v4, v[2:3], off glc
	s_cmpk_lt_u32 s23, 0xf43
	s_cselect_b64 s[36:37], -1, 0
	s_cmp_lg_u64 s[36:37], 0
	s_addc_u32 s23, s23, 0
	s_waitcnt vmcnt(0)
	v_cmp_ne_u32_e32 vcc, 0, v4
	s_or_b64 s[34:35], vcc, s[34:35]
	s_andn2_b64 exec, exec, s[34:35]
	s_cbranch_execz .LBB88_16
.LBB88_14:                              ;   Parent Loop BB88_10 Depth=1
                                        ; =>  This Loop Header: Depth=2
                                        ;       Child Loop BB88_15 Depth 3
	s_cmp_eq_u32 s23, 0
	s_mov_b32 s36, s23
	s_cbranch_scc1 .LBB88_13
.LBB88_15:                              ;   Parent Loop BB88_10 Depth=1
                                        ;     Parent Loop BB88_14 Depth=2
                                        ; =>    This Inner Loop Header: Depth=3
	s_add_i32 s36, s36, -1
	s_cmp_eq_u32 s36, 0
	s_sleep 1
	s_cbranch_scc0 .LBB88_15
	s_branch .LBB88_13
.LBB88_16:                              ;   in Loop: Header=BB88_10 Depth=1
	s_or_b64 exec, exec, s[30:31]
	buffer_wbinvl1_vol
	s_and_saveexec_b64 s[30:31], s[6:7]
	s_cbranch_execz .LBB88_8
; %bb.17:                               ;   in Loop: Header=BB88_10 Depth=1
	v_mul_lo_u32 v17, v0, s33
	v_mul_lo_u32 v18, v1, s33
	s_mov_b64 s[34:35], 0
	v_mov_b32_e32 v19, v15
	v_mov_b32_e32 v2, v11
	s_branch .LBB88_19
.LBB88_18:                              ;   in Loop: Header=BB88_19 Depth=2
	v_add_u32_e32 v12, v2, v14
	v_ashrrev_i32_e32 v13, 31, v12
	v_lshlrev_b64 v[12:13], 4, v[12:13]
	v_mov_b32_e32 v20, s9
	v_add_co_u32_e32 v12, vcc, s8, v12
	v_addc_co_u32_e32 v13, vcc, v20, v13, vcc
	global_load_dwordx4 v[20:23], v[12:13], off
	v_add_u32_e32 v2, 32, v2
	v_cmp_le_i32_e32 vcc, s33, v2
	s_or_b64 s[34:35], vcc, s[34:35]
	v_add_u32_e32 v19, s38, v19
	s_waitcnt vmcnt(0)
	v_add_f64 v[20:21], v[20:21], -v[5:6]
	v_add_f64 v[22:23], v[22:23], -v[3:4]
	global_store_dwordx4 v[12:13], v[20:23], off
	s_andn2_b64 exec, exec, s[34:35]
	s_cbranch_execz .LBB88_8
.LBB88_19:                              ;   Parent Loop BB88_10 Depth=1
                                        ; =>  This Loop Header: Depth=2
                                        ;       Child Loop BB88_21 Depth 3
	v_mov_b32_e32 v3, 0
	v_mov_b32_e32 v5, 0
	;; [unrolled: 1-line block ×4, first 2 shown]
	s_mov_b32 s23, 0
	s_branch .LBB88_21
.LBB88_20:                              ;   in Loop: Header=BB88_21 Depth=3
	v_ashrrev_i32_e32 v13, 31, v12
	v_lshlrev_b64 v[12:13], 4, v[12:13]
	v_mov_b32_e32 v20, s13
	v_add_co_u32_e32 v12, vcc, s12, v12
	v_addc_co_u32_e32 v13, vcc, v20, v13, vcc
	global_load_dwordx4 v[20:23], v[12:13], off
	v_add_u32_e32 v12, s23, v18
	v_ashrrev_i32_e32 v13, 31, v12
	v_lshlrev_b64 v[12:13], 4, v[12:13]
	v_mov_b32_e32 v24, s9
	v_add_co_u32_e32 v12, vcc, s8, v12
	v_addc_co_u32_e32 v13, vcc, v24, v13, vcc
	global_load_dwordx4 v[24:27], v[12:13], off
	s_add_i32 s23, s23, 1
	s_cmp_eq_u32 s33, s23
	s_waitcnt vmcnt(0)
	v_fma_f64 v[5:6], v[20:21], v[24:25], v[5:6]
	v_fma_f64 v[3:4], v[22:23], v[24:25], v[3:4]
	v_fma_f64 v[5:6], -v[22:23], v[26:27], v[5:6]
	v_fma_f64 v[3:4], v[20:21], v[26:27], v[3:4]
	s_cbranch_scc1 .LBB88_18
.LBB88_21:                              ;   Parent Loop BB88_10 Depth=1
                                        ;     Parent Loop BB88_19 Depth=2
                                        ; =>    This Inner Loop Header: Depth=3
	s_and_b64 vcc, exec, s[20:21]
	s_cbranch_vccz .LBB88_23
; %bb.22:                               ;   in Loop: Header=BB88_21 Depth=3
	v_add_u32_e32 v12, s23, v17
	v_mad_u64_u32 v[12:13], s[36:37], v12, s33, v[2:3]
	s_cbranch_execnz .LBB88_20
	s_branch .LBB88_24
.LBB88_23:                              ;   in Loop: Header=BB88_21 Depth=3
                                        ; implicit-def: $vgpr12
.LBB88_24:                              ;   in Loop: Header=BB88_21 Depth=3
	v_add_u32_e32 v12, s23, v19
	s_branch .LBB88_20
.LBB88_25:
	s_or_b64 exec, exec, s[24:25]
.LBB88_26:
	s_or_b64 exec, exec, s[4:5]
	s_cmp_gt_i32 s33, 0
	v_cmp_eq_u32_e32 vcc, v1, v8
	s_cselect_b64 s[4:5], -1, 0
	s_mov_b32 s26, 0
	s_and_b64 s[6:7], s[4:5], vcc
	s_mov_b64 s[4:5], 0
	s_and_saveexec_b64 s[20:21], s[6:7]
	s_cbranch_execz .LBB88_40
; %bb.27:
	v_mul_lo_u32 v15, v0, s33
	s_cmp_eq_u32 s17, 0
	s_cselect_b64 s[4:5], -1, 0
	s_cmp_lg_u32 s18, 0
	v_add_u32_e32 v0, v15, v11
	v_mul_lo_u32 v0, s33, v0
	v_add_u32_e32 v16, 1, v11
	s_cselect_b64 s[18:19], -1, 0
	s_add_i32 s17, s33, 1
	v_add_u32_e32 v17, s33, v0
	v_cndmask_b32_e64 v0, 0, 1, s[4:5]
	s_lshl_b32 s27, s33, 5
	s_mov_b64 s[24:25], 0
	v_cmp_ne_u32_e64 s[4:5], 1, v0
	v_mov_b32_e32 v18, s9
                                        ; implicit-def: $sgpr22_sgpr23
	s_and_b64 vcc, exec, s[4:5]
	s_cbranch_vccz .LBB88_29
.LBB88_28:
	v_mov_b32_e32 v6, 0
	v_mov_b32_e32 v4, 0
	;; [unrolled: 1-line block ×4, first 2 shown]
	s_branch .LBB88_30
.LBB88_29:
	s_waitcnt vmcnt(0)
	v_add_u32_e32 v0, s26, v15
	v_mul_lo_u32 v0, v0, s33
	v_mov_b32_e32 v2, s13
	v_add_u32_e32 v0, s26, v0
	v_ashrrev_i32_e32 v1, 31, v0
	v_lshlrev_b64 v[0:1], 4, v[0:1]
	v_add_co_u32_e32 v0, vcc, s12, v0
	v_addc_co_u32_e32 v1, vcc, v2, v1, vcc
	global_load_dwordx4 v[4:7], v[0:1], off
.LBB88_30:
	s_waitcnt vmcnt(0)
	v_add_u32_e32 v0, s26, v14
	v_ashrrev_i32_e32 v1, 31, v0
	v_lshlrev_b64 v[0:1], 4, v[0:1]
	s_waitcnt vmcnt(0)
	v_cmp_neq_f64_e64 s[6:7], 0, v[6:7]
	v_add_co_u32_e32 v12, vcc, s8, v0
	v_addc_co_u32_e32 v13, vcc, v18, v1, vcc
	global_load_dwordx4 v[0:3], v[12:13], off
	v_cmp_neq_f64_e32 vcc, 0, v[4:5]
	s_or_b64 s[22:23], s[22:23], exec
	s_or_b64 s[28:29], vcc, s[6:7]
	s_and_saveexec_b64 s[6:7], s[28:29]
	s_cbranch_execz .LBB88_32
; %bb.31:
	v_mul_f64 v[19:20], v[6:7], v[6:7]
	s_andn2_b64 s[22:23], s[22:23], exec
	s_and_b64 s[24:25], s[24:25], exec
	s_or_b64 s[22:23], s[22:23], s[24:25]
	v_fma_f64 v[19:20], v[4:5], v[4:5], v[19:20]
	v_div_scale_f64 v[21:22], s[28:29], v[19:20], v[19:20], 1.0
	v_rcp_f64_e32 v[23:24], v[21:22]
	v_fma_f64 v[25:26], -v[21:22], v[23:24], 1.0
	v_fma_f64 v[23:24], v[23:24], v[25:26], v[23:24]
	v_div_scale_f64 v[25:26], vcc, 1.0, v[19:20], 1.0
	v_fma_f64 v[27:28], -v[21:22], v[23:24], 1.0
	v_fma_f64 v[23:24], v[23:24], v[27:28], v[23:24]
	v_mul_f64 v[27:28], v[25:26], v[23:24]
	v_fma_f64 v[21:22], -v[21:22], v[27:28], v[25:26]
	v_div_fmas_f64 v[21:22], v[21:22], v[23:24], v[27:28]
	s_waitcnt vmcnt(0)
	v_mul_f64 v[23:24], v[6:7], v[2:3]
	v_mul_f64 v[6:7], v[6:7], -v[0:1]
	v_fma_f64 v[0:1], v[0:1], v[4:5], v[23:24]
	v_fma_f64 v[2:3], v[2:3], v[4:5], v[6:7]
	v_div_fixup_f64 v[19:20], v[21:22], v[19:20], 1.0
	v_mul_f64 v[0:1], v[19:20], v[0:1]
	v_mul_f64 v[2:3], v[19:20], v[2:3]
	global_store_dwordx4 v[12:13], v[0:3], off
.LBB88_32:
	s_or_b64 exec, exec, s[6:7]
	v_add_u32_e32 v6, s26, v16
	v_cmp_gt_i32_e32 vcc, s33, v6
	s_and_saveexec_b64 s[6:7], vcc
	s_cbranch_execz .LBB88_37
; %bb.33:
	v_add_u32_e32 v4, s26, v15
	v_mul_lo_u32 v7, v4, s33
	s_mov_b64 s[24:25], 0
	v_mov_b32_e32 v12, v17
	s_branch .LBB88_35
.LBB88_34:                              ;   in Loop: Header=BB88_35 Depth=1
	v_ashrrev_i32_e32 v5, 31, v4
	v_lshlrev_b64 v[4:5], 4, v[4:5]
	v_mov_b32_e32 v13, s13
	v_add_co_u32_e32 v4, vcc, s12, v4
	v_addc_co_u32_e32 v5, vcc, v13, v5, vcc
	global_load_dwordx4 v[19:22], v[4:5], off
	v_add_u32_e32 v4, v14, v6
	v_ashrrev_i32_e32 v5, 31, v4
	v_lshlrev_b64 v[4:5], 4, v[4:5]
	v_mov_b32_e32 v13, s9
	v_add_co_u32_e32 v4, vcc, s8, v4
	v_addc_co_u32_e32 v5, vcc, v13, v5, vcc
	global_load_dwordx4 v[23:26], v[4:5], off
	v_add_u32_e32 v6, 32, v6
	v_cmp_le_i32_e32 vcc, s33, v6
	s_or_b64 s[24:25], vcc, s[24:25]
	v_add_u32_e32 v12, s27, v12
	s_waitcnt vmcnt(1)
	v_mul_f64 v[27:28], v[21:22], -v[2:3]
	v_mul_f64 v[21:22], v[0:1], v[21:22]
	v_fma_f64 v[27:28], v[0:1], v[19:20], v[27:28]
	v_fma_f64 v[21:22], v[2:3], v[19:20], v[21:22]
	s_waitcnt vmcnt(0)
	v_add_f64 v[19:20], v[23:24], -v[27:28]
	v_add_f64 v[21:22], v[25:26], -v[21:22]
	global_store_dwordx4 v[4:5], v[19:22], off
	s_andn2_b64 exec, exec, s[24:25]
	s_cbranch_execz .LBB88_37
.LBB88_35:                              ; =>This Inner Loop Header: Depth=1
	s_andn2_b64 vcc, exec, s[18:19]
	v_mov_b32_e32 v4, v12
	s_cbranch_vccnz .LBB88_34
; %bb.36:                               ;   in Loop: Header=BB88_35 Depth=1
	v_add_u32_e32 v4, v6, v7
	s_branch .LBB88_34
.LBB88_37:
	s_or_b64 exec, exec, s[6:7]
	s_add_i32 s26, s26, 1
	s_cmp_eq_u32 s26, s33
	v_add_u32_e32 v17, s17, v17
	s_cbranch_scc1 .LBB88_39
; %bb.38:
	s_mov_b64 s[24:25], s[22:23]
	s_and_b64 vcc, exec, s[4:5]
	s_cbranch_vccnz .LBB88_28
	s_branch .LBB88_29
.LBB88_39:
	s_and_b64 s[4:5], s[22:23], exec
.LBB88_40:
	s_or_b64 exec, exec, s[20:21]
	v_cmp_eq_u32_e32 vcc, 0, v11
	s_and_b64 exec, exec, vcc
	s_cbranch_execz .LBB88_46
; %bb.41:
	s_waitcnt vmcnt(0)
	v_mov_b32_e32 v1, s11
	v_add_co_u32_e32 v0, vcc, s10, v9
	v_addc_co_u32_e32 v1, vcc, v1, v10, vcc
	v_mov_b32_e32 v2, 1
	global_store_dword v[0:1], v2, off
	s_and_b64 exec, exec, s[4:5]
	s_cbranch_execz .LBB88_46
; %bb.42:
	s_mov_b64 s[4:5], exec
	v_add_u32_e32 v0, s16, v8
	s_brev_b32 s6, -2
.LBB88_43:                              ; =>This Inner Loop Header: Depth=1
	s_ff1_i32_b64 s7, s[4:5]
	v_readlane_b32 s10, v0, s7
	s_lshl_b64 s[8:9], 1, s7
	s_min_i32 s6, s6, s10
	s_andn2_b64 s[4:5], s[4:5], s[8:9]
	s_cmp_lg_u64 s[4:5], 0
	s_cbranch_scc1 .LBB88_43
; %bb.44:
	v_mbcnt_lo_u32_b32 v0, exec_lo, 0
	v_mbcnt_hi_u32_b32 v0, exec_hi, v0
	v_cmp_eq_u32_e32 vcc, 0, v0
	s_and_saveexec_b64 s[4:5], vcc
	s_xor_b64 s[4:5], exec, s[4:5]
	s_cbranch_execz .LBB88_46
; %bb.45:
	v_mov_b32_e32 v0, 0
	v_mov_b32_e32 v1, s6
	global_atomic_smin v0, v1, s[14:15]
.LBB88_46:
	s_endpgm
	.section	.rodata,"a",@progbits
	.p2align	6, 0x0
	.amdhsa_kernel _ZN9rocsparseL19bsrsv_lower_generalILj128ELj32ELb1E21rocsparse_complex_numIdEEEviNS_24const_host_device_scalarIT2_EEPKiS7_PKS4_iS9_PS4_PiSB_SB_21rocsparse_index_base_20rocsparse_diag_type_20rocsparse_direction_b
		.amdhsa_group_segment_fixed_size 0
		.amdhsa_private_segment_fixed_size 16
		.amdhsa_kernarg_size 112
		.amdhsa_user_sgpr_count 8
		.amdhsa_user_sgpr_private_segment_buffer 1
		.amdhsa_user_sgpr_dispatch_ptr 0
		.amdhsa_user_sgpr_queue_ptr 0
		.amdhsa_user_sgpr_kernarg_segment_ptr 1
		.amdhsa_user_sgpr_dispatch_id 0
		.amdhsa_user_sgpr_flat_scratch_init 1
		.amdhsa_user_sgpr_private_segment_size 0
		.amdhsa_uses_dynamic_stack 0
		.amdhsa_system_sgpr_private_segment_wavefront_offset 1
		.amdhsa_system_sgpr_workgroup_id_x 1
		.amdhsa_system_sgpr_workgroup_id_y 0
		.amdhsa_system_sgpr_workgroup_id_z 0
		.amdhsa_system_sgpr_workgroup_info 0
		.amdhsa_system_vgpr_workitem_id 0
		.amdhsa_next_free_vgpr 29
		.amdhsa_next_free_sgpr 39
		.amdhsa_reserve_vcc 1
		.amdhsa_reserve_flat_scratch 1
		.amdhsa_float_round_mode_32 0
		.amdhsa_float_round_mode_16_64 0
		.amdhsa_float_denorm_mode_32 3
		.amdhsa_float_denorm_mode_16_64 3
		.amdhsa_dx10_clamp 1
		.amdhsa_ieee_mode 1
		.amdhsa_fp16_overflow 0
		.amdhsa_exception_fp_ieee_invalid_op 0
		.amdhsa_exception_fp_denorm_src 0
		.amdhsa_exception_fp_ieee_div_zero 0
		.amdhsa_exception_fp_ieee_overflow 0
		.amdhsa_exception_fp_ieee_underflow 0
		.amdhsa_exception_fp_ieee_inexact 0
		.amdhsa_exception_int_div_zero 0
	.end_amdhsa_kernel
	.section	.text._ZN9rocsparseL19bsrsv_lower_generalILj128ELj32ELb1E21rocsparse_complex_numIdEEEviNS_24const_host_device_scalarIT2_EEPKiS7_PKS4_iS9_PS4_PiSB_SB_21rocsparse_index_base_20rocsparse_diag_type_20rocsparse_direction_b,"axG",@progbits,_ZN9rocsparseL19bsrsv_lower_generalILj128ELj32ELb1E21rocsparse_complex_numIdEEEviNS_24const_host_device_scalarIT2_EEPKiS7_PKS4_iS9_PS4_PiSB_SB_21rocsparse_index_base_20rocsparse_diag_type_20rocsparse_direction_b,comdat
.Lfunc_end88:
	.size	_ZN9rocsparseL19bsrsv_lower_generalILj128ELj32ELb1E21rocsparse_complex_numIdEEEviNS_24const_host_device_scalarIT2_EEPKiS7_PKS4_iS9_PS4_PiSB_SB_21rocsparse_index_base_20rocsparse_diag_type_20rocsparse_direction_b, .Lfunc_end88-_ZN9rocsparseL19bsrsv_lower_generalILj128ELj32ELb1E21rocsparse_complex_numIdEEEviNS_24const_host_device_scalarIT2_EEPKiS7_PKS4_iS9_PS4_PiSB_SB_21rocsparse_index_base_20rocsparse_diag_type_20rocsparse_direction_b
                                        ; -- End function
	.set _ZN9rocsparseL19bsrsv_lower_generalILj128ELj32ELb1E21rocsparse_complex_numIdEEEviNS_24const_host_device_scalarIT2_EEPKiS7_PKS4_iS9_PS4_PiSB_SB_21rocsparse_index_base_20rocsparse_diag_type_20rocsparse_direction_b.num_vgpr, 29
	.set _ZN9rocsparseL19bsrsv_lower_generalILj128ELj32ELb1E21rocsparse_complex_numIdEEEviNS_24const_host_device_scalarIT2_EEPKiS7_PKS4_iS9_PS4_PiSB_SB_21rocsparse_index_base_20rocsparse_diag_type_20rocsparse_direction_b.num_agpr, 0
	.set _ZN9rocsparseL19bsrsv_lower_generalILj128ELj32ELb1E21rocsparse_complex_numIdEEEviNS_24const_host_device_scalarIT2_EEPKiS7_PKS4_iS9_PS4_PiSB_SB_21rocsparse_index_base_20rocsparse_diag_type_20rocsparse_direction_b.numbered_sgpr, 39
	.set _ZN9rocsparseL19bsrsv_lower_generalILj128ELj32ELb1E21rocsparse_complex_numIdEEEviNS_24const_host_device_scalarIT2_EEPKiS7_PKS4_iS9_PS4_PiSB_SB_21rocsparse_index_base_20rocsparse_diag_type_20rocsparse_direction_b.num_named_barrier, 0
	.set _ZN9rocsparseL19bsrsv_lower_generalILj128ELj32ELb1E21rocsparse_complex_numIdEEEviNS_24const_host_device_scalarIT2_EEPKiS7_PKS4_iS9_PS4_PiSB_SB_21rocsparse_index_base_20rocsparse_diag_type_20rocsparse_direction_b.private_seg_size, 16
	.set _ZN9rocsparseL19bsrsv_lower_generalILj128ELj32ELb1E21rocsparse_complex_numIdEEEviNS_24const_host_device_scalarIT2_EEPKiS7_PKS4_iS9_PS4_PiSB_SB_21rocsparse_index_base_20rocsparse_diag_type_20rocsparse_direction_b.uses_vcc, 1
	.set _ZN9rocsparseL19bsrsv_lower_generalILj128ELj32ELb1E21rocsparse_complex_numIdEEEviNS_24const_host_device_scalarIT2_EEPKiS7_PKS4_iS9_PS4_PiSB_SB_21rocsparse_index_base_20rocsparse_diag_type_20rocsparse_direction_b.uses_flat_scratch, 1
	.set _ZN9rocsparseL19bsrsv_lower_generalILj128ELj32ELb1E21rocsparse_complex_numIdEEEviNS_24const_host_device_scalarIT2_EEPKiS7_PKS4_iS9_PS4_PiSB_SB_21rocsparse_index_base_20rocsparse_diag_type_20rocsparse_direction_b.has_dyn_sized_stack, 0
	.set _ZN9rocsparseL19bsrsv_lower_generalILj128ELj32ELb1E21rocsparse_complex_numIdEEEviNS_24const_host_device_scalarIT2_EEPKiS7_PKS4_iS9_PS4_PiSB_SB_21rocsparse_index_base_20rocsparse_diag_type_20rocsparse_direction_b.has_recursion, 0
	.set _ZN9rocsparseL19bsrsv_lower_generalILj128ELj32ELb1E21rocsparse_complex_numIdEEEviNS_24const_host_device_scalarIT2_EEPKiS7_PKS4_iS9_PS4_PiSB_SB_21rocsparse_index_base_20rocsparse_diag_type_20rocsparse_direction_b.has_indirect_call, 0
	.section	.AMDGPU.csdata,"",@progbits
; Kernel info:
; codeLenInByte = 1928
; TotalNumSgprs: 45
; NumVgprs: 29
; ScratchSize: 16
; MemoryBound: 0
; FloatMode: 240
; IeeeMode: 1
; LDSByteSize: 0 bytes/workgroup (compile time only)
; SGPRBlocks: 5
; VGPRBlocks: 7
; NumSGPRsForWavesPerEU: 45
; NumVGPRsForWavesPerEU: 29
; Occupancy: 8
; WaveLimiterHint : 1
; COMPUTE_PGM_RSRC2:SCRATCH_EN: 1
; COMPUTE_PGM_RSRC2:USER_SGPR: 8
; COMPUTE_PGM_RSRC2:TRAP_HANDLER: 0
; COMPUTE_PGM_RSRC2:TGID_X_EN: 1
; COMPUTE_PGM_RSRC2:TGID_Y_EN: 0
; COMPUTE_PGM_RSRC2:TGID_Z_EN: 0
; COMPUTE_PGM_RSRC2:TIDIG_COMP_CNT: 0
	.section	.text._ZN9rocsparseL19bsrsv_lower_generalILj128ELj32ELb0E21rocsparse_complex_numIdEEEviNS_24const_host_device_scalarIT2_EEPKiS7_PKS4_iS9_PS4_PiSB_SB_21rocsparse_index_base_20rocsparse_diag_type_20rocsparse_direction_b,"axG",@progbits,_ZN9rocsparseL19bsrsv_lower_generalILj128ELj32ELb0E21rocsparse_complex_numIdEEEviNS_24const_host_device_scalarIT2_EEPKiS7_PKS4_iS9_PS4_PiSB_SB_21rocsparse_index_base_20rocsparse_diag_type_20rocsparse_direction_b,comdat
	.globl	_ZN9rocsparseL19bsrsv_lower_generalILj128ELj32ELb0E21rocsparse_complex_numIdEEEviNS_24const_host_device_scalarIT2_EEPKiS7_PKS4_iS9_PS4_PiSB_SB_21rocsparse_index_base_20rocsparse_diag_type_20rocsparse_direction_b ; -- Begin function _ZN9rocsparseL19bsrsv_lower_generalILj128ELj32ELb0E21rocsparse_complex_numIdEEEviNS_24const_host_device_scalarIT2_EEPKiS7_PKS4_iS9_PS4_PiSB_SB_21rocsparse_index_base_20rocsparse_diag_type_20rocsparse_direction_b
	.p2align	8
	.type	_ZN9rocsparseL19bsrsv_lower_generalILj128ELj32ELb0E21rocsparse_complex_numIdEEEviNS_24const_host_device_scalarIT2_EEPKiS7_PKS4_iS9_PS4_PiSB_SB_21rocsparse_index_base_20rocsparse_diag_type_20rocsparse_direction_b,@function
_ZN9rocsparseL19bsrsv_lower_generalILj128ELj32ELb0E21rocsparse_complex_numIdEEEviNS_24const_host_device_scalarIT2_EEPKiS7_PKS4_iS9_PS4_PiSB_SB_21rocsparse_index_base_20rocsparse_diag_type_20rocsparse_direction_b: ; @_ZN9rocsparseL19bsrsv_lower_generalILj128ELj32ELb0E21rocsparse_complex_numIdEEEviNS_24const_host_device_scalarIT2_EEPKiS7_PKS4_iS9_PS4_PiSB_SB_21rocsparse_index_base_20rocsparse_diag_type_20rocsparse_direction_b
; %bb.0:
	s_add_u32 flat_scratch_lo, s6, s9
	s_load_dwordx4 s[16:19], s[4:5], 0x60
	s_load_dwordx4 s[12:15], s[4:5], 0x8
	s_addc_u32 flat_scratch_hi, s7, 0
	s_add_u32 s0, s0, s9
	s_addc_u32 s1, s1, 0
	s_waitcnt lgkmcnt(0)
	s_bitcmp1_b32 s19, 0
	s_cselect_b64 s[10:11], -1, 0
	s_mov_b64 s[6:7], src_private_base
	v_mov_b32_e32 v1, s13
	s_and_b64 vcc, s[10:11], exec
	buffer_store_dword v1, off, s[0:3], 0 offset:4
	v_mov_b32_e32 v1, s12
	s_cselect_b32 s6, s7, s13
	s_cselect_b32 s7, 0, s12
	buffer_store_dword v1, off, s[0:3], 0
	v_mov_b32_e32 v1, s7
	v_mov_b32_e32 v2, s6
	flat_load_dwordx2 v[1:2], v[1:2]
	v_mov_b32_e32 v3, s14
	v_mov_b32_e32 v4, s15
	s_cbranch_vccnz .LBB89_2
; %bb.1:
	v_mov_b32_e32 v3, s12
	v_mov_b32_e32 v4, s13
	flat_load_dwordx2 v[3:4], v[3:4] offset:8
.LBB89_2:
	s_load_dword s19, s[4:5], 0x0
	s_lshl_b32 s6, s8, 2
	v_lshrrev_b32_e32 v5, 5, v0
	s_and_b32 s6, s6, 0x7fffffc
	v_or_b32_e32 v5, s6, v5
	s_waitcnt lgkmcnt(0)
	v_cmp_gt_i32_e32 vcc, s19, v5
	s_and_saveexec_b64 s[6:7], vcc
	s_cbranch_execz .LBB89_44
; %bb.3:
	s_load_dwordx8 s[8:15], s[4:5], 0x40
	v_lshlrev_b32_e32 v5, 2, v5
	s_load_dword s33, s[4:5], 0x30
	v_and_b32_e32 v11, 31, v0
	s_waitcnt lgkmcnt(0)
	global_load_dword v8, v5, s[12:13]
	s_load_dwordx4 s[20:23], s[4:5], 0x18
	s_load_dwordx2 s[12:13], s[4:5], 0x28
	v_cmp_gt_i32_e64 s[6:7], s33, v11
	s_waitcnt lgkmcnt(0)
	v_mov_b32_e32 v6, s21
	s_waitcnt vmcnt(0)
	v_ashrrev_i32_e32 v9, 31, v8
	v_lshlrev_b64 v[9:10], 2, v[8:9]
	v_add_co_u32_e32 v5, vcc, s20, v9
	v_addc_co_u32_e32 v6, vcc, v6, v10, vcc
	global_load_dwordx2 v[5:6], v[5:6], off
	s_and_saveexec_b64 s[20:21], s[6:7]
	s_cbranch_execz .LBB89_6
; %bb.4:
	v_mad_u64_u32 v[12:13], s[24:25], v8, s33, v[11:12]
	s_load_dwordx2 s[4:5], s[4:5], 0x38
	v_ashrrev_i32_e32 v13, 31, v12
	v_lshlrev_b64 v[14:15], 4, v[12:13]
	s_waitcnt lgkmcnt(0)
	v_mov_b32_e32 v0, s5
	v_or_b32_e32 v7, 8, v14
	v_add_co_u32_e32 v12, vcc, s4, v7
	v_addc_co_u32_e32 v13, vcc, v0, v15, vcc
	v_mov_b32_e32 v0, s9
	v_add_co_u32_e32 v14, vcc, s8, v7
	v_addc_co_u32_e32 v15, vcc, v0, v15, vcc
	s_mov_b64 s[4:5], 0
	v_mov_b32_e32 v0, v11
.LBB89_5:                               ; =>This Inner Loop Header: Depth=1
	global_load_dwordx4 v[16:19], v[12:13], off offset:-8
	v_add_co_u32_e32 v12, vcc, 0x200, v12
	v_add_u32_e32 v0, 32, v0
	v_addc_co_u32_e32 v13, vcc, 0, v13, vcc
	v_cmp_le_i32_e32 vcc, s33, v0
	s_or_b64 s[4:5], vcc, s[4:5]
	s_waitcnt vmcnt(0)
	v_mul_f64 v[20:21], v[18:19], -v[3:4]
	v_mul_f64 v[22:23], v[1:2], v[18:19]
	v_fma_f64 v[18:19], v[1:2], v[16:17], v[20:21]
	v_fma_f64 v[20:21], v[3:4], v[16:17], v[22:23]
	global_store_dwordx4 v[14:15], v[18:21], off offset:-8
	v_add_co_u32_e32 v14, vcc, 0x200, v14
	v_addc_co_u32_e32 v15, vcc, 0, v15, vcc
	s_andn2_b64 exec, exec, s[4:5]
	s_cbranch_execnz .LBB89_5
.LBB89_6:
	s_or_b64 exec, exec, s[20:21]
	v_mul_lo_u32 v14, v8, s33
	s_waitcnt vmcnt(0)
	v_subrev_u32_e32 v0, s16, v5
	v_cmp_lt_i32_e32 vcc, v5, v6
	v_mov_b32_e32 v1, s19
	s_and_saveexec_b64 s[4:5], vcc
	s_cbranch_execz .LBB89_24
; %bb.7:
	v_mad_u64_u32 v[1:2], s[20:21], s33, v0, v[11:12]
	s_cmp_lg_u32 s18, 0
	v_subrev_u32_e32 v7, s16, v6
	v_mul_lo_u32 v15, s33, v1
	s_cselect_b64 s[20:21], -1, 0
	s_mul_i32 s19, s33, s33
	s_lshl_b32 s38, s33, 5
	s_mov_b64 s[24:25], 0
	v_mov_b32_e32 v16, s23
                                        ; implicit-def: $sgpr26_sgpr27
	s_branch .LBB89_10
.LBB89_8:                               ;   in Loop: Header=BB89_10 Depth=1
	s_or_b64 exec, exec, s[30:31]
	v_add_u32_e32 v0, 1, v0
	v_cmp_ge_i32_e32 vcc, v0, v7
	s_andn2_b64 s[26:27], s[26:27], exec
	s_and_b64 s[30:31], vcc, exec
	v_add_u32_e32 v15, s19, v15
	s_or_b64 s[26:27], s[26:27], s[30:31]
.LBB89_9:                               ;   in Loop: Header=BB89_10 Depth=1
	s_or_b64 exec, exec, s[28:29]
	s_and_b64 s[28:29], exec, s[26:27]
	s_or_b64 s[24:25], s[28:29], s[24:25]
	s_andn2_b64 exec, exec, s[24:25]
	s_cbranch_execz .LBB89_23
.LBB89_10:                              ; =>This Loop Header: Depth=1
                                        ;     Child Loop BB89_13 Depth 2
                                        ;     Child Loop BB89_17 Depth 2
                                        ;       Child Loop BB89_19 Depth 3
	v_ashrrev_i32_e32 v1, 31, v0
	v_lshlrev_b64 v[1:2], 2, v[0:1]
	s_or_b64 s[26:27], s[26:27], exec
	v_add_co_u32_e32 v1, vcc, s22, v1
	v_addc_co_u32_e32 v2, vcc, v16, v2, vcc
	global_load_dword v1, v[1:2], off
	s_waitcnt vmcnt(0)
	v_subrev_u32_e32 v1, s16, v1
	v_cmp_lt_i32_e32 vcc, v1, v8
	s_and_saveexec_b64 s[28:29], vcc
	s_cbranch_execz .LBB89_9
; %bb.11:                               ;   in Loop: Header=BB89_10 Depth=1
	v_ashrrev_i32_e32 v2, 31, v1
	v_lshlrev_b64 v[2:3], 2, v[1:2]
	v_mov_b32_e32 v4, s11
	v_add_co_u32_e32 v2, vcc, s10, v2
	v_addc_co_u32_e32 v3, vcc, v4, v3, vcc
	global_load_dword v4, v[2:3], off glc
	s_waitcnt vmcnt(0)
	v_cmp_eq_u32_e32 vcc, 0, v4
	s_and_saveexec_b64 s[30:31], vcc
	s_cbranch_execz .LBB89_14
; %bb.12:                               ;   in Loop: Header=BB89_10 Depth=1
	s_mov_b64 s[34:35], 0
.LBB89_13:                              ;   Parent Loop BB89_10 Depth=1
                                        ; =>  This Inner Loop Header: Depth=2
	global_load_dword v4, v[2:3], off glc
	s_waitcnt vmcnt(0)
	v_cmp_ne_u32_e32 vcc, 0, v4
	s_or_b64 s[34:35], vcc, s[34:35]
	s_andn2_b64 exec, exec, s[34:35]
	s_cbranch_execnz .LBB89_13
.LBB89_14:                              ;   in Loop: Header=BB89_10 Depth=1
	s_or_b64 exec, exec, s[30:31]
	buffer_wbinvl1_vol
	s_and_saveexec_b64 s[30:31], s[6:7]
	s_cbranch_execz .LBB89_8
; %bb.15:                               ;   in Loop: Header=BB89_10 Depth=1
	v_mul_lo_u32 v17, v0, s33
	v_mul_lo_u32 v18, v1, s33
	s_mov_b64 s[34:35], 0
	v_mov_b32_e32 v19, v15
	v_mov_b32_e32 v2, v11
	s_branch .LBB89_17
.LBB89_16:                              ;   in Loop: Header=BB89_17 Depth=2
	v_add_u32_e32 v12, v2, v14
	v_ashrrev_i32_e32 v13, 31, v12
	v_lshlrev_b64 v[12:13], 4, v[12:13]
	v_mov_b32_e32 v20, s9
	v_add_co_u32_e32 v12, vcc, s8, v12
	v_addc_co_u32_e32 v13, vcc, v20, v13, vcc
	global_load_dwordx4 v[20:23], v[12:13], off
	v_add_u32_e32 v2, 32, v2
	v_cmp_le_i32_e32 vcc, s33, v2
	s_or_b64 s[34:35], vcc, s[34:35]
	v_add_u32_e32 v19, s38, v19
	s_waitcnt vmcnt(0)
	v_add_f64 v[20:21], v[20:21], -v[5:6]
	v_add_f64 v[22:23], v[22:23], -v[3:4]
	global_store_dwordx4 v[12:13], v[20:23], off
	s_andn2_b64 exec, exec, s[34:35]
	s_cbranch_execz .LBB89_8
.LBB89_17:                              ;   Parent Loop BB89_10 Depth=1
                                        ; =>  This Loop Header: Depth=2
                                        ;       Child Loop BB89_19 Depth 3
	v_mov_b32_e32 v3, 0
	v_mov_b32_e32 v5, 0
	;; [unrolled: 1-line block ×4, first 2 shown]
	s_mov_b32 s23, 0
	s_branch .LBB89_19
.LBB89_18:                              ;   in Loop: Header=BB89_19 Depth=3
	v_ashrrev_i32_e32 v13, 31, v12
	v_lshlrev_b64 v[12:13], 4, v[12:13]
	v_mov_b32_e32 v20, s13
	v_add_co_u32_e32 v12, vcc, s12, v12
	v_addc_co_u32_e32 v13, vcc, v20, v13, vcc
	global_load_dwordx4 v[20:23], v[12:13], off
	v_add_u32_e32 v12, s23, v18
	v_ashrrev_i32_e32 v13, 31, v12
	v_lshlrev_b64 v[12:13], 4, v[12:13]
	v_mov_b32_e32 v24, s9
	v_add_co_u32_e32 v12, vcc, s8, v12
	v_addc_co_u32_e32 v13, vcc, v24, v13, vcc
	global_load_dwordx4 v[24:27], v[12:13], off
	s_add_i32 s23, s23, 1
	s_cmp_eq_u32 s33, s23
	s_waitcnt vmcnt(0)
	v_fma_f64 v[5:6], v[20:21], v[24:25], v[5:6]
	v_fma_f64 v[3:4], v[22:23], v[24:25], v[3:4]
	v_fma_f64 v[5:6], -v[22:23], v[26:27], v[5:6]
	v_fma_f64 v[3:4], v[20:21], v[26:27], v[3:4]
	s_cbranch_scc1 .LBB89_16
.LBB89_19:                              ;   Parent Loop BB89_10 Depth=1
                                        ;     Parent Loop BB89_17 Depth=2
                                        ; =>    This Inner Loop Header: Depth=3
	s_and_b64 vcc, exec, s[20:21]
	s_cbranch_vccz .LBB89_21
; %bb.20:                               ;   in Loop: Header=BB89_19 Depth=3
	v_add_u32_e32 v12, s23, v17
	v_mad_u64_u32 v[12:13], s[36:37], v12, s33, v[2:3]
	s_cbranch_execnz .LBB89_18
	s_branch .LBB89_22
.LBB89_21:                              ;   in Loop: Header=BB89_19 Depth=3
                                        ; implicit-def: $vgpr12
.LBB89_22:                              ;   in Loop: Header=BB89_19 Depth=3
	v_add_u32_e32 v12, s23, v19
	s_branch .LBB89_18
.LBB89_23:
	s_or_b64 exec, exec, s[24:25]
.LBB89_24:
	s_or_b64 exec, exec, s[4:5]
	s_cmp_gt_i32 s33, 0
	v_cmp_eq_u32_e32 vcc, v1, v8
	s_cselect_b64 s[4:5], -1, 0
	s_mov_b32 s26, 0
	s_and_b64 s[6:7], s[4:5], vcc
	s_mov_b64 s[4:5], 0
	s_and_saveexec_b64 s[20:21], s[6:7]
	s_cbranch_execz .LBB89_38
; %bb.25:
	v_mul_lo_u32 v15, v0, s33
	s_cmp_eq_u32 s17, 0
	s_cselect_b64 s[4:5], -1, 0
	s_cmp_lg_u32 s18, 0
	v_add_u32_e32 v0, v15, v11
	v_mul_lo_u32 v0, s33, v0
	v_add_u32_e32 v16, 1, v11
	s_cselect_b64 s[18:19], -1, 0
	s_add_i32 s17, s33, 1
	v_add_u32_e32 v17, s33, v0
	v_cndmask_b32_e64 v0, 0, 1, s[4:5]
	s_lshl_b32 s27, s33, 5
	s_mov_b64 s[24:25], 0
	v_cmp_ne_u32_e64 s[4:5], 1, v0
	v_mov_b32_e32 v18, s9
                                        ; implicit-def: $sgpr22_sgpr23
	s_and_b64 vcc, exec, s[4:5]
	s_cbranch_vccz .LBB89_27
.LBB89_26:
	v_mov_b32_e32 v6, 0
	v_mov_b32_e32 v4, 0
	v_mov_b32_e32 v7, 0
	v_mov_b32_e32 v5, 0x3ff00000
	s_branch .LBB89_28
.LBB89_27:
	s_waitcnt vmcnt(0)
	v_add_u32_e32 v0, s26, v15
	v_mul_lo_u32 v0, v0, s33
	v_mov_b32_e32 v2, s13
	v_add_u32_e32 v0, s26, v0
	v_ashrrev_i32_e32 v1, 31, v0
	v_lshlrev_b64 v[0:1], 4, v[0:1]
	v_add_co_u32_e32 v0, vcc, s12, v0
	v_addc_co_u32_e32 v1, vcc, v2, v1, vcc
	global_load_dwordx4 v[4:7], v[0:1], off
.LBB89_28:
	s_waitcnt vmcnt(0)
	v_add_u32_e32 v0, s26, v14
	v_ashrrev_i32_e32 v1, 31, v0
	v_lshlrev_b64 v[0:1], 4, v[0:1]
	s_waitcnt vmcnt(0)
	v_cmp_neq_f64_e64 s[6:7], 0, v[6:7]
	v_add_co_u32_e32 v12, vcc, s8, v0
	v_addc_co_u32_e32 v13, vcc, v18, v1, vcc
	global_load_dwordx4 v[0:3], v[12:13], off
	v_cmp_neq_f64_e32 vcc, 0, v[4:5]
	s_or_b64 s[22:23], s[22:23], exec
	s_or_b64 s[28:29], vcc, s[6:7]
	s_and_saveexec_b64 s[6:7], s[28:29]
	s_cbranch_execz .LBB89_30
; %bb.29:
	v_mul_f64 v[19:20], v[6:7], v[6:7]
	s_andn2_b64 s[22:23], s[22:23], exec
	s_and_b64 s[24:25], s[24:25], exec
	s_or_b64 s[22:23], s[22:23], s[24:25]
	v_fma_f64 v[19:20], v[4:5], v[4:5], v[19:20]
	v_div_scale_f64 v[21:22], s[28:29], v[19:20], v[19:20], 1.0
	v_rcp_f64_e32 v[23:24], v[21:22]
	v_fma_f64 v[25:26], -v[21:22], v[23:24], 1.0
	v_fma_f64 v[23:24], v[23:24], v[25:26], v[23:24]
	v_div_scale_f64 v[25:26], vcc, 1.0, v[19:20], 1.0
	v_fma_f64 v[27:28], -v[21:22], v[23:24], 1.0
	v_fma_f64 v[23:24], v[23:24], v[27:28], v[23:24]
	v_mul_f64 v[27:28], v[25:26], v[23:24]
	v_fma_f64 v[21:22], -v[21:22], v[27:28], v[25:26]
	v_div_fmas_f64 v[21:22], v[21:22], v[23:24], v[27:28]
	s_waitcnt vmcnt(0)
	v_mul_f64 v[23:24], v[6:7], v[2:3]
	v_mul_f64 v[6:7], v[6:7], -v[0:1]
	v_fma_f64 v[0:1], v[0:1], v[4:5], v[23:24]
	v_fma_f64 v[2:3], v[2:3], v[4:5], v[6:7]
	v_div_fixup_f64 v[19:20], v[21:22], v[19:20], 1.0
	v_mul_f64 v[0:1], v[19:20], v[0:1]
	v_mul_f64 v[2:3], v[19:20], v[2:3]
	global_store_dwordx4 v[12:13], v[0:3], off
.LBB89_30:
	s_or_b64 exec, exec, s[6:7]
	v_add_u32_e32 v6, s26, v16
	v_cmp_gt_i32_e32 vcc, s33, v6
	s_and_saveexec_b64 s[6:7], vcc
	s_cbranch_execz .LBB89_35
; %bb.31:
	v_add_u32_e32 v4, s26, v15
	v_mul_lo_u32 v7, v4, s33
	s_mov_b64 s[24:25], 0
	v_mov_b32_e32 v12, v17
	s_branch .LBB89_33
.LBB89_32:                              ;   in Loop: Header=BB89_33 Depth=1
	v_ashrrev_i32_e32 v5, 31, v4
	v_lshlrev_b64 v[4:5], 4, v[4:5]
	v_mov_b32_e32 v13, s13
	v_add_co_u32_e32 v4, vcc, s12, v4
	v_addc_co_u32_e32 v5, vcc, v13, v5, vcc
	global_load_dwordx4 v[19:22], v[4:5], off
	v_add_u32_e32 v4, v14, v6
	v_ashrrev_i32_e32 v5, 31, v4
	v_lshlrev_b64 v[4:5], 4, v[4:5]
	v_mov_b32_e32 v13, s9
	v_add_co_u32_e32 v4, vcc, s8, v4
	v_addc_co_u32_e32 v5, vcc, v13, v5, vcc
	global_load_dwordx4 v[23:26], v[4:5], off
	v_add_u32_e32 v6, 32, v6
	v_cmp_le_i32_e32 vcc, s33, v6
	s_or_b64 s[24:25], vcc, s[24:25]
	v_add_u32_e32 v12, s27, v12
	s_waitcnt vmcnt(1)
	v_mul_f64 v[27:28], v[21:22], -v[2:3]
	v_mul_f64 v[21:22], v[0:1], v[21:22]
	v_fma_f64 v[27:28], v[0:1], v[19:20], v[27:28]
	v_fma_f64 v[21:22], v[2:3], v[19:20], v[21:22]
	s_waitcnt vmcnt(0)
	v_add_f64 v[19:20], v[23:24], -v[27:28]
	v_add_f64 v[21:22], v[25:26], -v[21:22]
	global_store_dwordx4 v[4:5], v[19:22], off
	s_andn2_b64 exec, exec, s[24:25]
	s_cbranch_execz .LBB89_35
.LBB89_33:                              ; =>This Inner Loop Header: Depth=1
	s_andn2_b64 vcc, exec, s[18:19]
	v_mov_b32_e32 v4, v12
	s_cbranch_vccnz .LBB89_32
; %bb.34:                               ;   in Loop: Header=BB89_33 Depth=1
	v_add_u32_e32 v4, v6, v7
	s_branch .LBB89_32
.LBB89_35:
	s_or_b64 exec, exec, s[6:7]
	s_add_i32 s26, s26, 1
	s_cmp_eq_u32 s26, s33
	v_add_u32_e32 v17, s17, v17
	s_cbranch_scc1 .LBB89_37
; %bb.36:
	s_mov_b64 s[24:25], s[22:23]
	s_and_b64 vcc, exec, s[4:5]
	s_cbranch_vccnz .LBB89_26
	s_branch .LBB89_27
.LBB89_37:
	s_and_b64 s[4:5], s[22:23], exec
.LBB89_38:
	s_or_b64 exec, exec, s[20:21]
	v_cmp_eq_u32_e32 vcc, 0, v11
	s_and_b64 exec, exec, vcc
	s_cbranch_execz .LBB89_44
; %bb.39:
	s_waitcnt vmcnt(0)
	v_mov_b32_e32 v1, s11
	v_add_co_u32_e32 v0, vcc, s10, v9
	v_addc_co_u32_e32 v1, vcc, v1, v10, vcc
	v_mov_b32_e32 v2, 1
	global_store_dword v[0:1], v2, off
	s_and_b64 exec, exec, s[4:5]
	s_cbranch_execz .LBB89_44
; %bb.40:
	s_mov_b64 s[4:5], exec
	v_add_u32_e32 v0, s16, v8
	s_brev_b32 s6, -2
.LBB89_41:                              ; =>This Inner Loop Header: Depth=1
	s_ff1_i32_b64 s7, s[4:5]
	v_readlane_b32 s10, v0, s7
	s_lshl_b64 s[8:9], 1, s7
	s_min_i32 s6, s6, s10
	s_andn2_b64 s[4:5], s[4:5], s[8:9]
	s_cmp_lg_u64 s[4:5], 0
	s_cbranch_scc1 .LBB89_41
; %bb.42:
	v_mbcnt_lo_u32_b32 v0, exec_lo, 0
	v_mbcnt_hi_u32_b32 v0, exec_hi, v0
	v_cmp_eq_u32_e32 vcc, 0, v0
	s_and_saveexec_b64 s[4:5], vcc
	s_xor_b64 s[4:5], exec, s[4:5]
	s_cbranch_execz .LBB89_44
; %bb.43:
	v_mov_b32_e32 v0, 0
	v_mov_b32_e32 v1, s6
	global_atomic_smin v0, v1, s[14:15]
.LBB89_44:
	s_endpgm
	.section	.rodata,"a",@progbits
	.p2align	6, 0x0
	.amdhsa_kernel _ZN9rocsparseL19bsrsv_lower_generalILj128ELj32ELb0E21rocsparse_complex_numIdEEEviNS_24const_host_device_scalarIT2_EEPKiS7_PKS4_iS9_PS4_PiSB_SB_21rocsparse_index_base_20rocsparse_diag_type_20rocsparse_direction_b
		.amdhsa_group_segment_fixed_size 0
		.amdhsa_private_segment_fixed_size 16
		.amdhsa_kernarg_size 112
		.amdhsa_user_sgpr_count 8
		.amdhsa_user_sgpr_private_segment_buffer 1
		.amdhsa_user_sgpr_dispatch_ptr 0
		.amdhsa_user_sgpr_queue_ptr 0
		.amdhsa_user_sgpr_kernarg_segment_ptr 1
		.amdhsa_user_sgpr_dispatch_id 0
		.amdhsa_user_sgpr_flat_scratch_init 1
		.amdhsa_user_sgpr_private_segment_size 0
		.amdhsa_uses_dynamic_stack 0
		.amdhsa_system_sgpr_private_segment_wavefront_offset 1
		.amdhsa_system_sgpr_workgroup_id_x 1
		.amdhsa_system_sgpr_workgroup_id_y 0
		.amdhsa_system_sgpr_workgroup_id_z 0
		.amdhsa_system_sgpr_workgroup_info 0
		.amdhsa_system_vgpr_workitem_id 0
		.amdhsa_next_free_vgpr 29
		.amdhsa_next_free_sgpr 39
		.amdhsa_reserve_vcc 1
		.amdhsa_reserve_flat_scratch 1
		.amdhsa_float_round_mode_32 0
		.amdhsa_float_round_mode_16_64 0
		.amdhsa_float_denorm_mode_32 3
		.amdhsa_float_denorm_mode_16_64 3
		.amdhsa_dx10_clamp 1
		.amdhsa_ieee_mode 1
		.amdhsa_fp16_overflow 0
		.amdhsa_exception_fp_ieee_invalid_op 0
		.amdhsa_exception_fp_denorm_src 0
		.amdhsa_exception_fp_ieee_div_zero 0
		.amdhsa_exception_fp_ieee_overflow 0
		.amdhsa_exception_fp_ieee_underflow 0
		.amdhsa_exception_fp_ieee_inexact 0
		.amdhsa_exception_int_div_zero 0
	.end_amdhsa_kernel
	.section	.text._ZN9rocsparseL19bsrsv_lower_generalILj128ELj32ELb0E21rocsparse_complex_numIdEEEviNS_24const_host_device_scalarIT2_EEPKiS7_PKS4_iS9_PS4_PiSB_SB_21rocsparse_index_base_20rocsparse_diag_type_20rocsparse_direction_b,"axG",@progbits,_ZN9rocsparseL19bsrsv_lower_generalILj128ELj32ELb0E21rocsparse_complex_numIdEEEviNS_24const_host_device_scalarIT2_EEPKiS7_PKS4_iS9_PS4_PiSB_SB_21rocsparse_index_base_20rocsparse_diag_type_20rocsparse_direction_b,comdat
.Lfunc_end89:
	.size	_ZN9rocsparseL19bsrsv_lower_generalILj128ELj32ELb0E21rocsparse_complex_numIdEEEviNS_24const_host_device_scalarIT2_EEPKiS7_PKS4_iS9_PS4_PiSB_SB_21rocsparse_index_base_20rocsparse_diag_type_20rocsparse_direction_b, .Lfunc_end89-_ZN9rocsparseL19bsrsv_lower_generalILj128ELj32ELb0E21rocsparse_complex_numIdEEEviNS_24const_host_device_scalarIT2_EEPKiS7_PKS4_iS9_PS4_PiSB_SB_21rocsparse_index_base_20rocsparse_diag_type_20rocsparse_direction_b
                                        ; -- End function
	.set _ZN9rocsparseL19bsrsv_lower_generalILj128ELj32ELb0E21rocsparse_complex_numIdEEEviNS_24const_host_device_scalarIT2_EEPKiS7_PKS4_iS9_PS4_PiSB_SB_21rocsparse_index_base_20rocsparse_diag_type_20rocsparse_direction_b.num_vgpr, 29
	.set _ZN9rocsparseL19bsrsv_lower_generalILj128ELj32ELb0E21rocsparse_complex_numIdEEEviNS_24const_host_device_scalarIT2_EEPKiS7_PKS4_iS9_PS4_PiSB_SB_21rocsparse_index_base_20rocsparse_diag_type_20rocsparse_direction_b.num_agpr, 0
	.set _ZN9rocsparseL19bsrsv_lower_generalILj128ELj32ELb0E21rocsparse_complex_numIdEEEviNS_24const_host_device_scalarIT2_EEPKiS7_PKS4_iS9_PS4_PiSB_SB_21rocsparse_index_base_20rocsparse_diag_type_20rocsparse_direction_b.numbered_sgpr, 39
	.set _ZN9rocsparseL19bsrsv_lower_generalILj128ELj32ELb0E21rocsparse_complex_numIdEEEviNS_24const_host_device_scalarIT2_EEPKiS7_PKS4_iS9_PS4_PiSB_SB_21rocsparse_index_base_20rocsparse_diag_type_20rocsparse_direction_b.num_named_barrier, 0
	.set _ZN9rocsparseL19bsrsv_lower_generalILj128ELj32ELb0E21rocsparse_complex_numIdEEEviNS_24const_host_device_scalarIT2_EEPKiS7_PKS4_iS9_PS4_PiSB_SB_21rocsparse_index_base_20rocsparse_diag_type_20rocsparse_direction_b.private_seg_size, 16
	.set _ZN9rocsparseL19bsrsv_lower_generalILj128ELj32ELb0E21rocsparse_complex_numIdEEEviNS_24const_host_device_scalarIT2_EEPKiS7_PKS4_iS9_PS4_PiSB_SB_21rocsparse_index_base_20rocsparse_diag_type_20rocsparse_direction_b.uses_vcc, 1
	.set _ZN9rocsparseL19bsrsv_lower_generalILj128ELj32ELb0E21rocsparse_complex_numIdEEEviNS_24const_host_device_scalarIT2_EEPKiS7_PKS4_iS9_PS4_PiSB_SB_21rocsparse_index_base_20rocsparse_diag_type_20rocsparse_direction_b.uses_flat_scratch, 1
	.set _ZN9rocsparseL19bsrsv_lower_generalILj128ELj32ELb0E21rocsparse_complex_numIdEEEviNS_24const_host_device_scalarIT2_EEPKiS7_PKS4_iS9_PS4_PiSB_SB_21rocsparse_index_base_20rocsparse_diag_type_20rocsparse_direction_b.has_dyn_sized_stack, 0
	.set _ZN9rocsparseL19bsrsv_lower_generalILj128ELj32ELb0E21rocsparse_complex_numIdEEEviNS_24const_host_device_scalarIT2_EEPKiS7_PKS4_iS9_PS4_PiSB_SB_21rocsparse_index_base_20rocsparse_diag_type_20rocsparse_direction_b.has_recursion, 0
	.set _ZN9rocsparseL19bsrsv_lower_generalILj128ELj32ELb0E21rocsparse_complex_numIdEEEviNS_24const_host_device_scalarIT2_EEPKiS7_PKS4_iS9_PS4_PiSB_SB_21rocsparse_index_base_20rocsparse_diag_type_20rocsparse_direction_b.has_indirect_call, 0
	.section	.AMDGPU.csdata,"",@progbits
; Kernel info:
; codeLenInByte = 1872
; TotalNumSgprs: 45
; NumVgprs: 29
; ScratchSize: 16
; MemoryBound: 0
; FloatMode: 240
; IeeeMode: 1
; LDSByteSize: 0 bytes/workgroup (compile time only)
; SGPRBlocks: 5
; VGPRBlocks: 7
; NumSGPRsForWavesPerEU: 45
; NumVGPRsForWavesPerEU: 29
; Occupancy: 8
; WaveLimiterHint : 1
; COMPUTE_PGM_RSRC2:SCRATCH_EN: 1
; COMPUTE_PGM_RSRC2:USER_SGPR: 8
; COMPUTE_PGM_RSRC2:TRAP_HANDLER: 0
; COMPUTE_PGM_RSRC2:TGID_X_EN: 1
; COMPUTE_PGM_RSRC2:TGID_Y_EN: 0
; COMPUTE_PGM_RSRC2:TGID_Z_EN: 0
; COMPUTE_PGM_RSRC2:TIDIG_COMP_CNT: 0
	.section	.text._ZN9rocsparseL19bsrsv_upper_generalILj128ELj32ELb1E21rocsparse_complex_numIdEEEviNS_24const_host_device_scalarIT2_EEPKiS7_PKS4_iS9_PS4_PiSB_SB_21rocsparse_index_base_20rocsparse_diag_type_20rocsparse_direction_b,"axG",@progbits,_ZN9rocsparseL19bsrsv_upper_generalILj128ELj32ELb1E21rocsparse_complex_numIdEEEviNS_24const_host_device_scalarIT2_EEPKiS7_PKS4_iS9_PS4_PiSB_SB_21rocsparse_index_base_20rocsparse_diag_type_20rocsparse_direction_b,comdat
	.globl	_ZN9rocsparseL19bsrsv_upper_generalILj128ELj32ELb1E21rocsparse_complex_numIdEEEviNS_24const_host_device_scalarIT2_EEPKiS7_PKS4_iS9_PS4_PiSB_SB_21rocsparse_index_base_20rocsparse_diag_type_20rocsparse_direction_b ; -- Begin function _ZN9rocsparseL19bsrsv_upper_generalILj128ELj32ELb1E21rocsparse_complex_numIdEEEviNS_24const_host_device_scalarIT2_EEPKiS7_PKS4_iS9_PS4_PiSB_SB_21rocsparse_index_base_20rocsparse_diag_type_20rocsparse_direction_b
	.p2align	8
	.type	_ZN9rocsparseL19bsrsv_upper_generalILj128ELj32ELb1E21rocsparse_complex_numIdEEEviNS_24const_host_device_scalarIT2_EEPKiS7_PKS4_iS9_PS4_PiSB_SB_21rocsparse_index_base_20rocsparse_diag_type_20rocsparse_direction_b,@function
_ZN9rocsparseL19bsrsv_upper_generalILj128ELj32ELb1E21rocsparse_complex_numIdEEEviNS_24const_host_device_scalarIT2_EEPKiS7_PKS4_iS9_PS4_PiSB_SB_21rocsparse_index_base_20rocsparse_diag_type_20rocsparse_direction_b: ; @_ZN9rocsparseL19bsrsv_upper_generalILj128ELj32ELb1E21rocsparse_complex_numIdEEEviNS_24const_host_device_scalarIT2_EEPKiS7_PKS4_iS9_PS4_PiSB_SB_21rocsparse_index_base_20rocsparse_diag_type_20rocsparse_direction_b
; %bb.0:
	s_add_u32 flat_scratch_lo, s6, s9
	s_load_dwordx4 s[16:19], s[4:5], 0x60
	s_load_dwordx4 s[12:15], s[4:5], 0x8
	s_addc_u32 flat_scratch_hi, s7, 0
	s_add_u32 s0, s0, s9
	s_addc_u32 s1, s1, 0
	s_waitcnt lgkmcnt(0)
	s_bitcmp1_b32 s19, 0
	s_cselect_b64 s[10:11], -1, 0
	s_mov_b64 s[6:7], src_private_base
	v_mov_b32_e32 v1, s13
	s_and_b64 vcc, s[10:11], exec
	buffer_store_dword v1, off, s[0:3], 0 offset:4
	v_mov_b32_e32 v1, s12
	s_cselect_b32 s6, s7, s13
	s_cselect_b32 s7, 0, s12
	buffer_store_dword v1, off, s[0:3], 0
	v_mov_b32_e32 v1, s7
	v_mov_b32_e32 v2, s6
	flat_load_dwordx2 v[1:2], v[1:2]
	v_mov_b32_e32 v3, s14
	v_mov_b32_e32 v4, s15
	s_cbranch_vccnz .LBB90_2
; %bb.1:
	v_mov_b32_e32 v3, s12
	v_mov_b32_e32 v4, s13
	flat_load_dwordx2 v[3:4], v[3:4] offset:8
.LBB90_2:
	s_load_dword s19, s[4:5], 0x0
	s_lshl_b32 s6, s8, 2
	v_lshrrev_b32_e32 v5, 5, v0
	s_and_b32 s6, s6, 0x7fffffc
	v_or_b32_e32 v5, s6, v5
	s_waitcnt lgkmcnt(0)
	v_cmp_gt_i32_e32 vcc, s19, v5
	s_and_saveexec_b64 s[6:7], vcc
	s_cbranch_execz .LBB90_47
; %bb.3:
	s_load_dwordx8 s[8:15], s[4:5], 0x40
	v_lshlrev_b32_e32 v5, 2, v5
	s_load_dword s33, s[4:5], 0x30
	v_and_b32_e32 v11, 31, v0
	s_waitcnt lgkmcnt(0)
	global_load_dword v8, v5, s[12:13]
	s_load_dwordx4 s[20:23], s[4:5], 0x18
	s_load_dwordx2 s[12:13], s[4:5], 0x28
	v_cmp_gt_i32_e64 s[6:7], s33, v11
	s_waitcnt lgkmcnt(0)
	v_mov_b32_e32 v6, s21
	s_waitcnt vmcnt(0)
	v_ashrrev_i32_e32 v9, 31, v8
	v_lshlrev_b64 v[9:10], 2, v[8:9]
	v_add_co_u32_e32 v5, vcc, s20, v9
	v_addc_co_u32_e32 v6, vcc, v6, v10, vcc
	global_load_dwordx2 v[5:6], v[5:6], off
	s_and_saveexec_b64 s[20:21], s[6:7]
	s_cbranch_execz .LBB90_6
; %bb.4:
	v_mad_u64_u32 v[12:13], s[24:25], v8, s33, v[11:12]
	s_load_dwordx2 s[4:5], s[4:5], 0x38
	v_ashrrev_i32_e32 v13, 31, v12
	v_lshlrev_b64 v[14:15], 4, v[12:13]
	s_waitcnt lgkmcnt(0)
	v_mov_b32_e32 v0, s5
	v_or_b32_e32 v7, 8, v14
	v_add_co_u32_e32 v12, vcc, s4, v7
	v_addc_co_u32_e32 v13, vcc, v0, v15, vcc
	v_mov_b32_e32 v0, s9
	v_add_co_u32_e32 v14, vcc, s8, v7
	v_addc_co_u32_e32 v15, vcc, v0, v15, vcc
	s_mov_b64 s[4:5], 0
	v_mov_b32_e32 v0, v11
.LBB90_5:                               ; =>This Inner Loop Header: Depth=1
	global_load_dwordx4 v[16:19], v[12:13], off offset:-8
	v_add_co_u32_e32 v12, vcc, 0x200, v12
	v_add_u32_e32 v0, 32, v0
	v_addc_co_u32_e32 v13, vcc, 0, v13, vcc
	v_cmp_le_i32_e32 vcc, s33, v0
	s_or_b64 s[4:5], vcc, s[4:5]
	s_waitcnt vmcnt(0)
	v_mul_f64 v[20:21], v[18:19], -v[3:4]
	v_mul_f64 v[22:23], v[1:2], v[18:19]
	v_fma_f64 v[18:19], v[1:2], v[16:17], v[20:21]
	v_fma_f64 v[20:21], v[3:4], v[16:17], v[22:23]
	global_store_dwordx4 v[14:15], v[18:21], off offset:-8
	v_add_co_u32_e32 v14, vcc, 0x200, v14
	v_addc_co_u32_e32 v15, vcc, 0, v15, vcc
	s_andn2_b64 exec, exec, s[4:5]
	s_cbranch_execnz .LBB90_5
.LBB90_6:
	s_or_b64 exec, exec, s[20:21]
	v_mul_lo_u32 v14, v8, s33
	s_waitcnt vmcnt(0)
	v_subrev_u32_e32 v7, s16, v5
	v_xad_u32 v0, s16, -1, v6
	v_cmp_ge_i32_e32 vcc, v0, v7
	v_mov_b32_e32 v1, s19
	s_and_saveexec_b64 s[4:5], vcc
	s_cbranch_execz .LBB90_26
; %bb.7:
	v_mad_u64_u32 v[1:2], s[20:21], s33, v0, v[11:12]
	s_cmp_lg_u32 s18, 0
	s_cselect_b64 s[20:21], -1, 0
	v_mul_lo_u32 v15, s33, v1
	s_mul_i32 s19, s33, s33
	s_lshl_b32 s38, s33, 5
	s_mov_b64 s[24:25], 0
	v_mov_b32_e32 v16, s23
                                        ; implicit-def: $sgpr26_sgpr27
	s_branch .LBB90_10
.LBB90_8:                               ;   in Loop: Header=BB90_10 Depth=1
	s_or_b64 exec, exec, s[30:31]
	v_cmp_le_i32_e32 vcc, v0, v7
	v_add_u32_e32 v2, -1, v0
	s_andn2_b64 s[26:27], s[26:27], exec
	s_and_b64 s[30:31], vcc, exec
	v_subrev_u32_e32 v15, s19, v15
	s_or_b64 s[26:27], s[26:27], s[30:31]
	v_mov_b32_e32 v0, v2
.LBB90_9:                               ;   in Loop: Header=BB90_10 Depth=1
	s_or_b64 exec, exec, s[28:29]
	s_and_b64 s[28:29], exec, s[26:27]
	s_or_b64 s[24:25], s[28:29], s[24:25]
	s_andn2_b64 exec, exec, s[24:25]
	s_cbranch_execz .LBB90_25
.LBB90_10:                              ; =>This Loop Header: Depth=1
                                        ;     Child Loop BB90_14 Depth 2
                                        ;       Child Loop BB90_15 Depth 3
                                        ;     Child Loop BB90_19 Depth 2
                                        ;       Child Loop BB90_21 Depth 3
	v_ashrrev_i32_e32 v1, 31, v0
	v_lshlrev_b64 v[1:2], 2, v[0:1]
	s_or_b64 s[26:27], s[26:27], exec
	v_add_co_u32_e32 v1, vcc, s22, v1
	v_addc_co_u32_e32 v2, vcc, v16, v2, vcc
	global_load_dword v1, v[1:2], off
	s_waitcnt vmcnt(0)
	v_subrev_u32_e32 v1, s16, v1
	v_cmp_gt_i32_e32 vcc, v1, v8
	s_and_saveexec_b64 s[28:29], vcc
	s_cbranch_execz .LBB90_9
; %bb.11:                               ;   in Loop: Header=BB90_10 Depth=1
	v_ashrrev_i32_e32 v2, 31, v1
	v_lshlrev_b64 v[2:3], 2, v[1:2]
	v_mov_b32_e32 v4, s11
	v_add_co_u32_e32 v2, vcc, s10, v2
	v_addc_co_u32_e32 v3, vcc, v4, v3, vcc
	global_load_dword v4, v[2:3], off glc
	s_waitcnt vmcnt(0)
	v_cmp_eq_u32_e32 vcc, 0, v4
	s_and_saveexec_b64 s[30:31], vcc
	s_cbranch_execz .LBB90_16
; %bb.12:                               ;   in Loop: Header=BB90_10 Depth=1
	s_mov_b32 s23, 0
	s_mov_b64 s[34:35], 0
	s_branch .LBB90_14
.LBB90_13:                              ;   in Loop: Header=BB90_14 Depth=2
	global_load_dword v4, v[2:3], off glc
	s_cmpk_lt_u32 s23, 0xf43
	s_cselect_b64 s[36:37], -1, 0
	s_cmp_lg_u64 s[36:37], 0
	s_addc_u32 s23, s23, 0
	s_waitcnt vmcnt(0)
	v_cmp_ne_u32_e32 vcc, 0, v4
	s_or_b64 s[34:35], vcc, s[34:35]
	s_andn2_b64 exec, exec, s[34:35]
	s_cbranch_execz .LBB90_16
.LBB90_14:                              ;   Parent Loop BB90_10 Depth=1
                                        ; =>  This Loop Header: Depth=2
                                        ;       Child Loop BB90_15 Depth 3
	s_cmp_eq_u32 s23, 0
	s_mov_b32 s36, s23
	s_cbranch_scc1 .LBB90_13
.LBB90_15:                              ;   Parent Loop BB90_10 Depth=1
                                        ;     Parent Loop BB90_14 Depth=2
                                        ; =>    This Inner Loop Header: Depth=3
	s_add_i32 s36, s36, -1
	s_cmp_eq_u32 s36, 0
	s_sleep 1
	s_cbranch_scc0 .LBB90_15
	s_branch .LBB90_13
.LBB90_16:                              ;   in Loop: Header=BB90_10 Depth=1
	s_or_b64 exec, exec, s[30:31]
	buffer_wbinvl1_vol
	s_and_saveexec_b64 s[30:31], s[6:7]
	s_cbranch_execz .LBB90_8
; %bb.17:                               ;   in Loop: Header=BB90_10 Depth=1
	v_mul_lo_u32 v17, v0, s33
	v_mul_lo_u32 v18, v1, s33
	s_mov_b64 s[34:35], 0
	v_mov_b32_e32 v19, v15
	v_mov_b32_e32 v2, v11
	s_branch .LBB90_19
.LBB90_18:                              ;   in Loop: Header=BB90_19 Depth=2
	v_add_u32_e32 v12, v2, v14
	v_ashrrev_i32_e32 v13, 31, v12
	v_lshlrev_b64 v[12:13], 4, v[12:13]
	v_mov_b32_e32 v20, s9
	v_add_co_u32_e32 v12, vcc, s8, v12
	v_addc_co_u32_e32 v13, vcc, v20, v13, vcc
	global_load_dwordx4 v[20:23], v[12:13], off
	v_add_u32_e32 v2, 32, v2
	v_cmp_le_i32_e32 vcc, s33, v2
	s_or_b64 s[34:35], vcc, s[34:35]
	v_add_u32_e32 v19, s38, v19
	s_waitcnt vmcnt(0)
	v_add_f64 v[20:21], v[20:21], -v[5:6]
	v_add_f64 v[22:23], v[22:23], -v[3:4]
	global_store_dwordx4 v[12:13], v[20:23], off
	s_andn2_b64 exec, exec, s[34:35]
	s_cbranch_execz .LBB90_8
.LBB90_19:                              ;   Parent Loop BB90_10 Depth=1
                                        ; =>  This Loop Header: Depth=2
                                        ;       Child Loop BB90_21 Depth 3
	v_mov_b32_e32 v3, 0
	v_mov_b32_e32 v5, 0
	;; [unrolled: 1-line block ×4, first 2 shown]
	s_mov_b32 s23, 0
	s_branch .LBB90_21
.LBB90_20:                              ;   in Loop: Header=BB90_21 Depth=3
	v_ashrrev_i32_e32 v13, 31, v12
	v_lshlrev_b64 v[12:13], 4, v[12:13]
	v_mov_b32_e32 v20, s13
	v_add_co_u32_e32 v12, vcc, s12, v12
	v_addc_co_u32_e32 v13, vcc, v20, v13, vcc
	global_load_dwordx4 v[20:23], v[12:13], off
	v_add_u32_e32 v12, s23, v18
	v_ashrrev_i32_e32 v13, 31, v12
	v_lshlrev_b64 v[12:13], 4, v[12:13]
	v_mov_b32_e32 v24, s9
	v_add_co_u32_e32 v12, vcc, s8, v12
	v_addc_co_u32_e32 v13, vcc, v24, v13, vcc
	global_load_dwordx4 v[24:27], v[12:13], off
	s_add_i32 s23, s23, 1
	s_cmp_eq_u32 s33, s23
	s_waitcnt vmcnt(0)
	v_fma_f64 v[5:6], v[20:21], v[24:25], v[5:6]
	v_fma_f64 v[3:4], v[22:23], v[24:25], v[3:4]
	v_fma_f64 v[5:6], -v[22:23], v[26:27], v[5:6]
	v_fma_f64 v[3:4], v[20:21], v[26:27], v[3:4]
	s_cbranch_scc1 .LBB90_18
.LBB90_21:                              ;   Parent Loop BB90_10 Depth=1
                                        ;     Parent Loop BB90_19 Depth=2
                                        ; =>    This Inner Loop Header: Depth=3
	s_and_b64 vcc, exec, s[20:21]
	s_cbranch_vccz .LBB90_23
; %bb.22:                               ;   in Loop: Header=BB90_21 Depth=3
	v_add_u32_e32 v12, s23, v17
	v_mad_u64_u32 v[12:13], s[36:37], v12, s33, v[2:3]
	s_cbranch_execnz .LBB90_20
	s_branch .LBB90_24
.LBB90_23:                              ;   in Loop: Header=BB90_21 Depth=3
                                        ; implicit-def: $vgpr12
.LBB90_24:                              ;   in Loop: Header=BB90_21 Depth=3
	v_add_u32_e32 v12, s23, v19
	s_branch .LBB90_20
.LBB90_25:
	s_or_b64 exec, exec, s[24:25]
.LBB90_26:
	s_or_b64 exec, exec, s[4:5]
	s_cmp_gt_i32 s33, 0
	v_cmp_eq_u32_e32 vcc, v1, v8
	s_cselect_b64 s[4:5], -1, 0
	s_and_b64 s[6:7], s[4:5], vcc
	s_mov_b64 s[4:5], 0
	s_and_saveexec_b64 s[20:21], s[6:7]
	s_cbranch_execz .LBB90_41
; %bb.27:
	v_mul_lo_u32 v15, v0, s33
	s_cmp_eq_u32 s17, 0
	s_cselect_b64 s[4:5], -1, 0
	s_cmp_lg_u32 s18, 0
	v_add_u32_e32 v0, v15, v11
	v_mul_lo_u32 v0, s33, v0
	v_ashrrev_i32_e32 v16, 31, v14
	s_cselect_b64 s[18:19], -1, 0
	s_lshl_b32 s17, s33, 5
	v_add3_u32 v17, v0, s33, -1
	v_cndmask_b32_e64 v0, 0, 1, s[4:5]
	s_mov_b64 s[24:25], 0
	v_cmp_ne_u32_e64 s[4:5], 1, v0
	v_mov_b32_e32 v18, s9
                                        ; implicit-def: $sgpr22_sgpr23
	s_mov_b32 s26, s33
	s_and_b64 vcc, exec, s[4:5]
	s_add_i32 s27, s26, -1
	s_cbranch_vccz .LBB90_29
.LBB90_28:
	v_mov_b32_e32 v6, 0
	v_mov_b32_e32 v4, 0
	;; [unrolled: 1-line block ×4, first 2 shown]
	s_branch .LBB90_30
.LBB90_29:
	s_waitcnt vmcnt(0)
	v_add_u32_e32 v0, s27, v15
	v_mul_lo_u32 v0, v0, s33
	v_mov_b32_e32 v2, s13
	v_add_u32_e32 v0, s27, v0
	v_ashrrev_i32_e32 v1, 31, v0
	v_lshlrev_b64 v[0:1], 4, v[0:1]
	v_add_co_u32_e32 v0, vcc, s12, v0
	v_addc_co_u32_e32 v1, vcc, v2, v1, vcc
	global_load_dwordx4 v[4:7], v[0:1], off
.LBB90_30:
	s_ashr_i32 s6, s26, 31
	s_waitcnt vmcnt(0)
	v_mov_b32_e32 v1, s6
	v_add_co_u32_e32 v0, vcc, s26, v14
	v_addc_co_u32_e32 v1, vcc, v1, v16, vcc
	v_lshlrev_b64 v[0:1], 4, v[0:1]
	s_waitcnt vmcnt(0)
	v_cmp_neq_f64_e64 s[6:7], 0, v[6:7]
	v_add_co_u32_e32 v12, vcc, s8, v0
	v_addc_co_u32_e32 v13, vcc, v18, v1, vcc
	global_load_dwordx4 v[0:3], v[12:13], off offset:-16
	v_cmp_neq_f64_e32 vcc, 0, v[4:5]
	s_or_b64 s[22:23], s[22:23], exec
	s_or_b64 s[28:29], vcc, s[6:7]
	s_and_saveexec_b64 s[6:7], s[28:29]
	s_cbranch_execz .LBB90_32
; %bb.31:
	v_mul_f64 v[19:20], v[6:7], v[6:7]
	s_andn2_b64 s[22:23], s[22:23], exec
	s_and_b64 s[24:25], s[24:25], exec
	s_or_b64 s[22:23], s[22:23], s[24:25]
	v_fma_f64 v[19:20], v[4:5], v[4:5], v[19:20]
	v_div_scale_f64 v[21:22], s[28:29], v[19:20], v[19:20], 1.0
	v_rcp_f64_e32 v[23:24], v[21:22]
	v_fma_f64 v[25:26], -v[21:22], v[23:24], 1.0
	v_fma_f64 v[23:24], v[23:24], v[25:26], v[23:24]
	v_div_scale_f64 v[25:26], vcc, 1.0, v[19:20], 1.0
	v_fma_f64 v[27:28], -v[21:22], v[23:24], 1.0
	v_fma_f64 v[23:24], v[23:24], v[27:28], v[23:24]
	v_mul_f64 v[27:28], v[25:26], v[23:24]
	v_fma_f64 v[21:22], -v[21:22], v[27:28], v[25:26]
	v_div_fmas_f64 v[21:22], v[21:22], v[23:24], v[27:28]
	s_waitcnt vmcnt(0)
	v_mul_f64 v[23:24], v[6:7], v[2:3]
	v_mul_f64 v[6:7], v[6:7], -v[0:1]
	v_fma_f64 v[0:1], v[0:1], v[4:5], v[23:24]
	v_fma_f64 v[2:3], v[2:3], v[4:5], v[6:7]
	v_div_fixup_f64 v[19:20], v[21:22], v[19:20], 1.0
	v_mul_f64 v[0:1], v[19:20], v[0:1]
	v_mul_f64 v[2:3], v[19:20], v[2:3]
	global_store_dwordx4 v[12:13], v[0:3], off offset:-16
.LBB90_32:
	s_or_b64 exec, exec, s[6:7]
	v_cmp_gt_i32_e32 vcc, s27, v11
	s_and_saveexec_b64 s[6:7], vcc
	s_cbranch_execz .LBB90_37
; %bb.33:
	v_add_u32_e32 v4, s27, v15
	v_mul_lo_u32 v6, v4, s33
	s_mov_b64 s[24:25], 0
	v_mov_b32_e32 v7, v17
	v_mov_b32_e32 v12, v11
	s_branch .LBB90_35
.LBB90_34:                              ;   in Loop: Header=BB90_35 Depth=1
	v_ashrrev_i32_e32 v5, 31, v4
	v_lshlrev_b64 v[4:5], 4, v[4:5]
	v_mov_b32_e32 v13, s13
	v_add_co_u32_e32 v4, vcc, s12, v4
	v_addc_co_u32_e32 v5, vcc, v13, v5, vcc
	global_load_dwordx4 v[19:22], v[4:5], off
	v_add_u32_e32 v4, v14, v12
	v_ashrrev_i32_e32 v5, 31, v4
	v_lshlrev_b64 v[4:5], 4, v[4:5]
	v_mov_b32_e32 v13, s9
	v_add_co_u32_e32 v4, vcc, s8, v4
	v_addc_co_u32_e32 v5, vcc, v13, v5, vcc
	global_load_dwordx4 v[23:26], v[4:5], off
	v_add_u32_e32 v12, 32, v12
	v_cmp_le_i32_e32 vcc, s27, v12
	s_or_b64 s[24:25], vcc, s[24:25]
	v_add_u32_e32 v7, s17, v7
	s_waitcnt vmcnt(1)
	v_mul_f64 v[27:28], v[21:22], -v[2:3]
	v_mul_f64 v[21:22], v[0:1], v[21:22]
	v_fma_f64 v[27:28], v[0:1], v[19:20], v[27:28]
	v_fma_f64 v[21:22], v[2:3], v[19:20], v[21:22]
	s_waitcnt vmcnt(0)
	v_add_f64 v[19:20], v[23:24], -v[27:28]
	v_add_f64 v[21:22], v[25:26], -v[21:22]
	global_store_dwordx4 v[4:5], v[19:22], off
	s_andn2_b64 exec, exec, s[24:25]
	s_cbranch_execz .LBB90_37
.LBB90_35:                              ; =>This Inner Loop Header: Depth=1
	s_andn2_b64 vcc, exec, s[18:19]
	v_mov_b32_e32 v4, v7
	s_cbranch_vccnz .LBB90_34
; %bb.36:                               ;   in Loop: Header=BB90_35 Depth=1
	v_add_u32_e32 v4, v12, v6
	s_branch .LBB90_34
.LBB90_37:
	s_or_b64 exec, exec, s[6:7]
; %bb.38:
	s_cmp_lt_i32 s26, 2
	v_add_u32_e32 v17, -1, v17
	s_cbranch_scc1 .LBB90_40
; %bb.39:
	s_mov_b64 s[24:25], s[22:23]
	s_mov_b32 s26, s27
	s_and_b64 vcc, exec, s[4:5]
	s_add_i32 s27, s26, -1
	s_cbranch_vccnz .LBB90_28
	s_branch .LBB90_29
.LBB90_40:
	s_and_b64 s[4:5], s[22:23], exec
.LBB90_41:
	s_or_b64 exec, exec, s[20:21]
	v_cmp_eq_u32_e32 vcc, 0, v11
	s_and_b64 exec, exec, vcc
	s_cbranch_execz .LBB90_47
; %bb.42:
	s_waitcnt vmcnt(0)
	v_mov_b32_e32 v1, s11
	v_add_co_u32_e32 v0, vcc, s10, v9
	v_addc_co_u32_e32 v1, vcc, v1, v10, vcc
	v_mov_b32_e32 v2, 1
	global_store_dword v[0:1], v2, off
	s_and_b64 exec, exec, s[4:5]
	s_cbranch_execz .LBB90_47
; %bb.43:
	s_mov_b64 s[4:5], exec
	v_add_u32_e32 v0, s16, v8
	s_brev_b32 s6, -2
.LBB90_44:                              ; =>This Inner Loop Header: Depth=1
	s_ff1_i32_b64 s7, s[4:5]
	v_readlane_b32 s10, v0, s7
	s_lshl_b64 s[8:9], 1, s7
	s_min_i32 s6, s6, s10
	s_andn2_b64 s[4:5], s[4:5], s[8:9]
	s_cmp_lg_u64 s[4:5], 0
	s_cbranch_scc1 .LBB90_44
; %bb.45:
	v_mbcnt_lo_u32_b32 v0, exec_lo, 0
	v_mbcnt_hi_u32_b32 v0, exec_hi, v0
	v_cmp_eq_u32_e32 vcc, 0, v0
	s_and_saveexec_b64 s[4:5], vcc
	s_xor_b64 s[4:5], exec, s[4:5]
	s_cbranch_execz .LBB90_47
; %bb.46:
	v_mov_b32_e32 v0, 0
	v_mov_b32_e32 v1, s6
	global_atomic_smin v0, v1, s[14:15]
.LBB90_47:
	s_endpgm
	.section	.rodata,"a",@progbits
	.p2align	6, 0x0
	.amdhsa_kernel _ZN9rocsparseL19bsrsv_upper_generalILj128ELj32ELb1E21rocsparse_complex_numIdEEEviNS_24const_host_device_scalarIT2_EEPKiS7_PKS4_iS9_PS4_PiSB_SB_21rocsparse_index_base_20rocsparse_diag_type_20rocsparse_direction_b
		.amdhsa_group_segment_fixed_size 0
		.amdhsa_private_segment_fixed_size 16
		.amdhsa_kernarg_size 112
		.amdhsa_user_sgpr_count 8
		.amdhsa_user_sgpr_private_segment_buffer 1
		.amdhsa_user_sgpr_dispatch_ptr 0
		.amdhsa_user_sgpr_queue_ptr 0
		.amdhsa_user_sgpr_kernarg_segment_ptr 1
		.amdhsa_user_sgpr_dispatch_id 0
		.amdhsa_user_sgpr_flat_scratch_init 1
		.amdhsa_user_sgpr_private_segment_size 0
		.amdhsa_uses_dynamic_stack 0
		.amdhsa_system_sgpr_private_segment_wavefront_offset 1
		.amdhsa_system_sgpr_workgroup_id_x 1
		.amdhsa_system_sgpr_workgroup_id_y 0
		.amdhsa_system_sgpr_workgroup_id_z 0
		.amdhsa_system_sgpr_workgroup_info 0
		.amdhsa_system_vgpr_workitem_id 0
		.amdhsa_next_free_vgpr 29
		.amdhsa_next_free_sgpr 39
		.amdhsa_reserve_vcc 1
		.amdhsa_reserve_flat_scratch 1
		.amdhsa_float_round_mode_32 0
		.amdhsa_float_round_mode_16_64 0
		.amdhsa_float_denorm_mode_32 3
		.amdhsa_float_denorm_mode_16_64 3
		.amdhsa_dx10_clamp 1
		.amdhsa_ieee_mode 1
		.amdhsa_fp16_overflow 0
		.amdhsa_exception_fp_ieee_invalid_op 0
		.amdhsa_exception_fp_denorm_src 0
		.amdhsa_exception_fp_ieee_div_zero 0
		.amdhsa_exception_fp_ieee_overflow 0
		.amdhsa_exception_fp_ieee_underflow 0
		.amdhsa_exception_fp_ieee_inexact 0
		.amdhsa_exception_int_div_zero 0
	.end_amdhsa_kernel
	.section	.text._ZN9rocsparseL19bsrsv_upper_generalILj128ELj32ELb1E21rocsparse_complex_numIdEEEviNS_24const_host_device_scalarIT2_EEPKiS7_PKS4_iS9_PS4_PiSB_SB_21rocsparse_index_base_20rocsparse_diag_type_20rocsparse_direction_b,"axG",@progbits,_ZN9rocsparseL19bsrsv_upper_generalILj128ELj32ELb1E21rocsparse_complex_numIdEEEviNS_24const_host_device_scalarIT2_EEPKiS7_PKS4_iS9_PS4_PiSB_SB_21rocsparse_index_base_20rocsparse_diag_type_20rocsparse_direction_b,comdat
.Lfunc_end90:
	.size	_ZN9rocsparseL19bsrsv_upper_generalILj128ELj32ELb1E21rocsparse_complex_numIdEEEviNS_24const_host_device_scalarIT2_EEPKiS7_PKS4_iS9_PS4_PiSB_SB_21rocsparse_index_base_20rocsparse_diag_type_20rocsparse_direction_b, .Lfunc_end90-_ZN9rocsparseL19bsrsv_upper_generalILj128ELj32ELb1E21rocsparse_complex_numIdEEEviNS_24const_host_device_scalarIT2_EEPKiS7_PKS4_iS9_PS4_PiSB_SB_21rocsparse_index_base_20rocsparse_diag_type_20rocsparse_direction_b
                                        ; -- End function
	.set _ZN9rocsparseL19bsrsv_upper_generalILj128ELj32ELb1E21rocsparse_complex_numIdEEEviNS_24const_host_device_scalarIT2_EEPKiS7_PKS4_iS9_PS4_PiSB_SB_21rocsparse_index_base_20rocsparse_diag_type_20rocsparse_direction_b.num_vgpr, 29
	.set _ZN9rocsparseL19bsrsv_upper_generalILj128ELj32ELb1E21rocsparse_complex_numIdEEEviNS_24const_host_device_scalarIT2_EEPKiS7_PKS4_iS9_PS4_PiSB_SB_21rocsparse_index_base_20rocsparse_diag_type_20rocsparse_direction_b.num_agpr, 0
	.set _ZN9rocsparseL19bsrsv_upper_generalILj128ELj32ELb1E21rocsparse_complex_numIdEEEviNS_24const_host_device_scalarIT2_EEPKiS7_PKS4_iS9_PS4_PiSB_SB_21rocsparse_index_base_20rocsparse_diag_type_20rocsparse_direction_b.numbered_sgpr, 39
	.set _ZN9rocsparseL19bsrsv_upper_generalILj128ELj32ELb1E21rocsparse_complex_numIdEEEviNS_24const_host_device_scalarIT2_EEPKiS7_PKS4_iS9_PS4_PiSB_SB_21rocsparse_index_base_20rocsparse_diag_type_20rocsparse_direction_b.num_named_barrier, 0
	.set _ZN9rocsparseL19bsrsv_upper_generalILj128ELj32ELb1E21rocsparse_complex_numIdEEEviNS_24const_host_device_scalarIT2_EEPKiS7_PKS4_iS9_PS4_PiSB_SB_21rocsparse_index_base_20rocsparse_diag_type_20rocsparse_direction_b.private_seg_size, 16
	.set _ZN9rocsparseL19bsrsv_upper_generalILj128ELj32ELb1E21rocsparse_complex_numIdEEEviNS_24const_host_device_scalarIT2_EEPKiS7_PKS4_iS9_PS4_PiSB_SB_21rocsparse_index_base_20rocsparse_diag_type_20rocsparse_direction_b.uses_vcc, 1
	.set _ZN9rocsparseL19bsrsv_upper_generalILj128ELj32ELb1E21rocsparse_complex_numIdEEEviNS_24const_host_device_scalarIT2_EEPKiS7_PKS4_iS9_PS4_PiSB_SB_21rocsparse_index_base_20rocsparse_diag_type_20rocsparse_direction_b.uses_flat_scratch, 1
	.set _ZN9rocsparseL19bsrsv_upper_generalILj128ELj32ELb1E21rocsparse_complex_numIdEEEviNS_24const_host_device_scalarIT2_EEPKiS7_PKS4_iS9_PS4_PiSB_SB_21rocsparse_index_base_20rocsparse_diag_type_20rocsparse_direction_b.has_dyn_sized_stack, 0
	.set _ZN9rocsparseL19bsrsv_upper_generalILj128ELj32ELb1E21rocsparse_complex_numIdEEEviNS_24const_host_device_scalarIT2_EEPKiS7_PKS4_iS9_PS4_PiSB_SB_21rocsparse_index_base_20rocsparse_diag_type_20rocsparse_direction_b.has_recursion, 0
	.set _ZN9rocsparseL19bsrsv_upper_generalILj128ELj32ELb1E21rocsparse_complex_numIdEEEviNS_24const_host_device_scalarIT2_EEPKiS7_PKS4_iS9_PS4_PiSB_SB_21rocsparse_index_base_20rocsparse_diag_type_20rocsparse_direction_b.has_indirect_call, 0
	.section	.AMDGPU.csdata,"",@progbits
; Kernel info:
; codeLenInByte = 1952
; TotalNumSgprs: 45
; NumVgprs: 29
; ScratchSize: 16
; MemoryBound: 0
; FloatMode: 240
; IeeeMode: 1
; LDSByteSize: 0 bytes/workgroup (compile time only)
; SGPRBlocks: 5
; VGPRBlocks: 7
; NumSGPRsForWavesPerEU: 45
; NumVGPRsForWavesPerEU: 29
; Occupancy: 8
; WaveLimiterHint : 1
; COMPUTE_PGM_RSRC2:SCRATCH_EN: 1
; COMPUTE_PGM_RSRC2:USER_SGPR: 8
; COMPUTE_PGM_RSRC2:TRAP_HANDLER: 0
; COMPUTE_PGM_RSRC2:TGID_X_EN: 1
; COMPUTE_PGM_RSRC2:TGID_Y_EN: 0
; COMPUTE_PGM_RSRC2:TGID_Z_EN: 0
; COMPUTE_PGM_RSRC2:TIDIG_COMP_CNT: 0
	.section	.text._ZN9rocsparseL19bsrsv_upper_generalILj128ELj32ELb0E21rocsparse_complex_numIdEEEviNS_24const_host_device_scalarIT2_EEPKiS7_PKS4_iS9_PS4_PiSB_SB_21rocsparse_index_base_20rocsparse_diag_type_20rocsparse_direction_b,"axG",@progbits,_ZN9rocsparseL19bsrsv_upper_generalILj128ELj32ELb0E21rocsparse_complex_numIdEEEviNS_24const_host_device_scalarIT2_EEPKiS7_PKS4_iS9_PS4_PiSB_SB_21rocsparse_index_base_20rocsparse_diag_type_20rocsparse_direction_b,comdat
	.globl	_ZN9rocsparseL19bsrsv_upper_generalILj128ELj32ELb0E21rocsparse_complex_numIdEEEviNS_24const_host_device_scalarIT2_EEPKiS7_PKS4_iS9_PS4_PiSB_SB_21rocsparse_index_base_20rocsparse_diag_type_20rocsparse_direction_b ; -- Begin function _ZN9rocsparseL19bsrsv_upper_generalILj128ELj32ELb0E21rocsparse_complex_numIdEEEviNS_24const_host_device_scalarIT2_EEPKiS7_PKS4_iS9_PS4_PiSB_SB_21rocsparse_index_base_20rocsparse_diag_type_20rocsparse_direction_b
	.p2align	8
	.type	_ZN9rocsparseL19bsrsv_upper_generalILj128ELj32ELb0E21rocsparse_complex_numIdEEEviNS_24const_host_device_scalarIT2_EEPKiS7_PKS4_iS9_PS4_PiSB_SB_21rocsparse_index_base_20rocsparse_diag_type_20rocsparse_direction_b,@function
_ZN9rocsparseL19bsrsv_upper_generalILj128ELj32ELb0E21rocsparse_complex_numIdEEEviNS_24const_host_device_scalarIT2_EEPKiS7_PKS4_iS9_PS4_PiSB_SB_21rocsparse_index_base_20rocsparse_diag_type_20rocsparse_direction_b: ; @_ZN9rocsparseL19bsrsv_upper_generalILj128ELj32ELb0E21rocsparse_complex_numIdEEEviNS_24const_host_device_scalarIT2_EEPKiS7_PKS4_iS9_PS4_PiSB_SB_21rocsparse_index_base_20rocsparse_diag_type_20rocsparse_direction_b
; %bb.0:
	s_add_u32 flat_scratch_lo, s6, s9
	s_load_dwordx4 s[16:19], s[4:5], 0x60
	s_load_dwordx4 s[12:15], s[4:5], 0x8
	s_addc_u32 flat_scratch_hi, s7, 0
	s_add_u32 s0, s0, s9
	s_addc_u32 s1, s1, 0
	s_waitcnt lgkmcnt(0)
	s_bitcmp1_b32 s19, 0
	s_cselect_b64 s[10:11], -1, 0
	s_mov_b64 s[6:7], src_private_base
	v_mov_b32_e32 v1, s13
	s_and_b64 vcc, s[10:11], exec
	buffer_store_dword v1, off, s[0:3], 0 offset:4
	v_mov_b32_e32 v1, s12
	s_cselect_b32 s6, s7, s13
	s_cselect_b32 s7, 0, s12
	buffer_store_dword v1, off, s[0:3], 0
	v_mov_b32_e32 v1, s7
	v_mov_b32_e32 v2, s6
	flat_load_dwordx2 v[1:2], v[1:2]
	v_mov_b32_e32 v3, s14
	v_mov_b32_e32 v4, s15
	s_cbranch_vccnz .LBB91_2
; %bb.1:
	v_mov_b32_e32 v3, s12
	v_mov_b32_e32 v4, s13
	flat_load_dwordx2 v[3:4], v[3:4] offset:8
.LBB91_2:
	s_load_dword s19, s[4:5], 0x0
	s_lshl_b32 s6, s8, 2
	v_lshrrev_b32_e32 v5, 5, v0
	s_and_b32 s6, s6, 0x7fffffc
	v_or_b32_e32 v5, s6, v5
	s_waitcnt lgkmcnt(0)
	v_cmp_gt_i32_e32 vcc, s19, v5
	s_and_saveexec_b64 s[6:7], vcc
	s_cbranch_execz .LBB91_45
; %bb.3:
	s_load_dwordx8 s[8:15], s[4:5], 0x40
	v_lshlrev_b32_e32 v5, 2, v5
	s_load_dword s33, s[4:5], 0x30
	v_and_b32_e32 v11, 31, v0
	s_waitcnt lgkmcnt(0)
	global_load_dword v8, v5, s[12:13]
	s_load_dwordx4 s[20:23], s[4:5], 0x18
	s_load_dwordx2 s[12:13], s[4:5], 0x28
	v_cmp_gt_i32_e64 s[6:7], s33, v11
	s_waitcnt lgkmcnt(0)
	v_mov_b32_e32 v6, s21
	s_waitcnt vmcnt(0)
	v_ashrrev_i32_e32 v9, 31, v8
	v_lshlrev_b64 v[9:10], 2, v[8:9]
	v_add_co_u32_e32 v5, vcc, s20, v9
	v_addc_co_u32_e32 v6, vcc, v6, v10, vcc
	global_load_dwordx2 v[5:6], v[5:6], off
	s_and_saveexec_b64 s[20:21], s[6:7]
	s_cbranch_execz .LBB91_6
; %bb.4:
	v_mad_u64_u32 v[12:13], s[24:25], v8, s33, v[11:12]
	s_load_dwordx2 s[4:5], s[4:5], 0x38
	v_ashrrev_i32_e32 v13, 31, v12
	v_lshlrev_b64 v[14:15], 4, v[12:13]
	s_waitcnt lgkmcnt(0)
	v_mov_b32_e32 v0, s5
	v_or_b32_e32 v7, 8, v14
	v_add_co_u32_e32 v12, vcc, s4, v7
	v_addc_co_u32_e32 v13, vcc, v0, v15, vcc
	v_mov_b32_e32 v0, s9
	v_add_co_u32_e32 v14, vcc, s8, v7
	v_addc_co_u32_e32 v15, vcc, v0, v15, vcc
	s_mov_b64 s[4:5], 0
	v_mov_b32_e32 v0, v11
.LBB91_5:                               ; =>This Inner Loop Header: Depth=1
	global_load_dwordx4 v[16:19], v[12:13], off offset:-8
	v_add_co_u32_e32 v12, vcc, 0x200, v12
	v_add_u32_e32 v0, 32, v0
	v_addc_co_u32_e32 v13, vcc, 0, v13, vcc
	v_cmp_le_i32_e32 vcc, s33, v0
	s_or_b64 s[4:5], vcc, s[4:5]
	s_waitcnt vmcnt(0)
	v_mul_f64 v[20:21], v[18:19], -v[3:4]
	v_mul_f64 v[22:23], v[1:2], v[18:19]
	v_fma_f64 v[18:19], v[1:2], v[16:17], v[20:21]
	v_fma_f64 v[20:21], v[3:4], v[16:17], v[22:23]
	global_store_dwordx4 v[14:15], v[18:21], off offset:-8
	v_add_co_u32_e32 v14, vcc, 0x200, v14
	v_addc_co_u32_e32 v15, vcc, 0, v15, vcc
	s_andn2_b64 exec, exec, s[4:5]
	s_cbranch_execnz .LBB91_5
.LBB91_6:
	s_or_b64 exec, exec, s[20:21]
	v_mul_lo_u32 v14, v8, s33
	s_waitcnt vmcnt(0)
	v_subrev_u32_e32 v7, s16, v5
	v_xad_u32 v0, s16, -1, v6
	v_cmp_ge_i32_e32 vcc, v0, v7
	v_mov_b32_e32 v1, s19
	s_and_saveexec_b64 s[4:5], vcc
	s_cbranch_execz .LBB91_24
; %bb.7:
	v_mad_u64_u32 v[1:2], s[20:21], s33, v0, v[11:12]
	s_cmp_lg_u32 s18, 0
	s_cselect_b64 s[20:21], -1, 0
	v_mul_lo_u32 v15, s33, v1
	s_mul_i32 s19, s33, s33
	s_lshl_b32 s38, s33, 5
	s_mov_b64 s[24:25], 0
	v_mov_b32_e32 v16, s23
                                        ; implicit-def: $sgpr26_sgpr27
	s_branch .LBB91_10
.LBB91_8:                               ;   in Loop: Header=BB91_10 Depth=1
	s_or_b64 exec, exec, s[30:31]
	v_cmp_le_i32_e32 vcc, v0, v7
	v_add_u32_e32 v2, -1, v0
	s_andn2_b64 s[26:27], s[26:27], exec
	s_and_b64 s[30:31], vcc, exec
	v_subrev_u32_e32 v15, s19, v15
	s_or_b64 s[26:27], s[26:27], s[30:31]
	v_mov_b32_e32 v0, v2
.LBB91_9:                               ;   in Loop: Header=BB91_10 Depth=1
	s_or_b64 exec, exec, s[28:29]
	s_and_b64 s[28:29], exec, s[26:27]
	s_or_b64 s[24:25], s[28:29], s[24:25]
	s_andn2_b64 exec, exec, s[24:25]
	s_cbranch_execz .LBB91_23
.LBB91_10:                              ; =>This Loop Header: Depth=1
                                        ;     Child Loop BB91_13 Depth 2
                                        ;     Child Loop BB91_17 Depth 2
                                        ;       Child Loop BB91_19 Depth 3
	v_ashrrev_i32_e32 v1, 31, v0
	v_lshlrev_b64 v[1:2], 2, v[0:1]
	s_or_b64 s[26:27], s[26:27], exec
	v_add_co_u32_e32 v1, vcc, s22, v1
	v_addc_co_u32_e32 v2, vcc, v16, v2, vcc
	global_load_dword v1, v[1:2], off
	s_waitcnt vmcnt(0)
	v_subrev_u32_e32 v1, s16, v1
	v_cmp_gt_i32_e32 vcc, v1, v8
	s_and_saveexec_b64 s[28:29], vcc
	s_cbranch_execz .LBB91_9
; %bb.11:                               ;   in Loop: Header=BB91_10 Depth=1
	v_ashrrev_i32_e32 v2, 31, v1
	v_lshlrev_b64 v[2:3], 2, v[1:2]
	v_mov_b32_e32 v4, s11
	v_add_co_u32_e32 v2, vcc, s10, v2
	v_addc_co_u32_e32 v3, vcc, v4, v3, vcc
	global_load_dword v4, v[2:3], off glc
	s_waitcnt vmcnt(0)
	v_cmp_eq_u32_e32 vcc, 0, v4
	s_and_saveexec_b64 s[30:31], vcc
	s_cbranch_execz .LBB91_14
; %bb.12:                               ;   in Loop: Header=BB91_10 Depth=1
	s_mov_b64 s[34:35], 0
.LBB91_13:                              ;   Parent Loop BB91_10 Depth=1
                                        ; =>  This Inner Loop Header: Depth=2
	global_load_dword v4, v[2:3], off glc
	s_waitcnt vmcnt(0)
	v_cmp_ne_u32_e32 vcc, 0, v4
	s_or_b64 s[34:35], vcc, s[34:35]
	s_andn2_b64 exec, exec, s[34:35]
	s_cbranch_execnz .LBB91_13
.LBB91_14:                              ;   in Loop: Header=BB91_10 Depth=1
	s_or_b64 exec, exec, s[30:31]
	buffer_wbinvl1_vol
	s_and_saveexec_b64 s[30:31], s[6:7]
	s_cbranch_execz .LBB91_8
; %bb.15:                               ;   in Loop: Header=BB91_10 Depth=1
	v_mul_lo_u32 v17, v0, s33
	v_mul_lo_u32 v18, v1, s33
	s_mov_b64 s[34:35], 0
	v_mov_b32_e32 v19, v15
	v_mov_b32_e32 v2, v11
	s_branch .LBB91_17
.LBB91_16:                              ;   in Loop: Header=BB91_17 Depth=2
	v_add_u32_e32 v12, v2, v14
	v_ashrrev_i32_e32 v13, 31, v12
	v_lshlrev_b64 v[12:13], 4, v[12:13]
	v_mov_b32_e32 v20, s9
	v_add_co_u32_e32 v12, vcc, s8, v12
	v_addc_co_u32_e32 v13, vcc, v20, v13, vcc
	global_load_dwordx4 v[20:23], v[12:13], off
	v_add_u32_e32 v2, 32, v2
	v_cmp_le_i32_e32 vcc, s33, v2
	s_or_b64 s[34:35], vcc, s[34:35]
	v_add_u32_e32 v19, s38, v19
	s_waitcnt vmcnt(0)
	v_add_f64 v[20:21], v[20:21], -v[5:6]
	v_add_f64 v[22:23], v[22:23], -v[3:4]
	global_store_dwordx4 v[12:13], v[20:23], off
	s_andn2_b64 exec, exec, s[34:35]
	s_cbranch_execz .LBB91_8
.LBB91_17:                              ;   Parent Loop BB91_10 Depth=1
                                        ; =>  This Loop Header: Depth=2
                                        ;       Child Loop BB91_19 Depth 3
	v_mov_b32_e32 v3, 0
	v_mov_b32_e32 v5, 0
	;; [unrolled: 1-line block ×4, first 2 shown]
	s_mov_b32 s23, 0
	s_branch .LBB91_19
.LBB91_18:                              ;   in Loop: Header=BB91_19 Depth=3
	v_ashrrev_i32_e32 v13, 31, v12
	v_lshlrev_b64 v[12:13], 4, v[12:13]
	v_mov_b32_e32 v20, s13
	v_add_co_u32_e32 v12, vcc, s12, v12
	v_addc_co_u32_e32 v13, vcc, v20, v13, vcc
	global_load_dwordx4 v[20:23], v[12:13], off
	v_add_u32_e32 v12, s23, v18
	v_ashrrev_i32_e32 v13, 31, v12
	v_lshlrev_b64 v[12:13], 4, v[12:13]
	v_mov_b32_e32 v24, s9
	v_add_co_u32_e32 v12, vcc, s8, v12
	v_addc_co_u32_e32 v13, vcc, v24, v13, vcc
	global_load_dwordx4 v[24:27], v[12:13], off
	s_add_i32 s23, s23, 1
	s_cmp_eq_u32 s33, s23
	s_waitcnt vmcnt(0)
	v_fma_f64 v[5:6], v[20:21], v[24:25], v[5:6]
	v_fma_f64 v[3:4], v[22:23], v[24:25], v[3:4]
	v_fma_f64 v[5:6], -v[22:23], v[26:27], v[5:6]
	v_fma_f64 v[3:4], v[20:21], v[26:27], v[3:4]
	s_cbranch_scc1 .LBB91_16
.LBB91_19:                              ;   Parent Loop BB91_10 Depth=1
                                        ;     Parent Loop BB91_17 Depth=2
                                        ; =>    This Inner Loop Header: Depth=3
	s_and_b64 vcc, exec, s[20:21]
	s_cbranch_vccz .LBB91_21
; %bb.20:                               ;   in Loop: Header=BB91_19 Depth=3
	v_add_u32_e32 v12, s23, v17
	v_mad_u64_u32 v[12:13], s[36:37], v12, s33, v[2:3]
	s_cbranch_execnz .LBB91_18
	s_branch .LBB91_22
.LBB91_21:                              ;   in Loop: Header=BB91_19 Depth=3
                                        ; implicit-def: $vgpr12
.LBB91_22:                              ;   in Loop: Header=BB91_19 Depth=3
	v_add_u32_e32 v12, s23, v19
	s_branch .LBB91_18
.LBB91_23:
	s_or_b64 exec, exec, s[24:25]
.LBB91_24:
	s_or_b64 exec, exec, s[4:5]
	s_cmp_gt_i32 s33, 0
	v_cmp_eq_u32_e32 vcc, v1, v8
	s_cselect_b64 s[4:5], -1, 0
	s_and_b64 s[6:7], s[4:5], vcc
	s_mov_b64 s[4:5], 0
	s_and_saveexec_b64 s[20:21], s[6:7]
	s_cbranch_execz .LBB91_39
; %bb.25:
	v_mul_lo_u32 v15, v0, s33
	s_cmp_eq_u32 s17, 0
	s_cselect_b64 s[4:5], -1, 0
	s_cmp_lg_u32 s18, 0
	v_add_u32_e32 v0, v15, v11
	v_mul_lo_u32 v0, s33, v0
	v_ashrrev_i32_e32 v16, 31, v14
	s_cselect_b64 s[18:19], -1, 0
	s_lshl_b32 s17, s33, 5
	v_add3_u32 v17, v0, s33, -1
	v_cndmask_b32_e64 v0, 0, 1, s[4:5]
	s_mov_b64 s[24:25], 0
	v_cmp_ne_u32_e64 s[4:5], 1, v0
	v_mov_b32_e32 v18, s9
                                        ; implicit-def: $sgpr22_sgpr23
	s_mov_b32 s26, s33
	s_and_b64 vcc, exec, s[4:5]
	s_add_i32 s27, s26, -1
	s_cbranch_vccz .LBB91_27
.LBB91_26:
	v_mov_b32_e32 v6, 0
	v_mov_b32_e32 v4, 0
	;; [unrolled: 1-line block ×4, first 2 shown]
	s_branch .LBB91_28
.LBB91_27:
	s_waitcnt vmcnt(0)
	v_add_u32_e32 v0, s27, v15
	v_mul_lo_u32 v0, v0, s33
	v_mov_b32_e32 v2, s13
	v_add_u32_e32 v0, s27, v0
	v_ashrrev_i32_e32 v1, 31, v0
	v_lshlrev_b64 v[0:1], 4, v[0:1]
	v_add_co_u32_e32 v0, vcc, s12, v0
	v_addc_co_u32_e32 v1, vcc, v2, v1, vcc
	global_load_dwordx4 v[4:7], v[0:1], off
.LBB91_28:
	s_ashr_i32 s6, s26, 31
	s_waitcnt vmcnt(0)
	v_mov_b32_e32 v1, s6
	v_add_co_u32_e32 v0, vcc, s26, v14
	v_addc_co_u32_e32 v1, vcc, v1, v16, vcc
	v_lshlrev_b64 v[0:1], 4, v[0:1]
	s_waitcnt vmcnt(0)
	v_cmp_neq_f64_e64 s[6:7], 0, v[6:7]
	v_add_co_u32_e32 v12, vcc, s8, v0
	v_addc_co_u32_e32 v13, vcc, v18, v1, vcc
	global_load_dwordx4 v[0:3], v[12:13], off offset:-16
	v_cmp_neq_f64_e32 vcc, 0, v[4:5]
	s_or_b64 s[22:23], s[22:23], exec
	s_or_b64 s[28:29], vcc, s[6:7]
	s_and_saveexec_b64 s[6:7], s[28:29]
	s_cbranch_execz .LBB91_30
; %bb.29:
	v_mul_f64 v[19:20], v[6:7], v[6:7]
	s_andn2_b64 s[22:23], s[22:23], exec
	s_and_b64 s[24:25], s[24:25], exec
	s_or_b64 s[22:23], s[22:23], s[24:25]
	v_fma_f64 v[19:20], v[4:5], v[4:5], v[19:20]
	v_div_scale_f64 v[21:22], s[28:29], v[19:20], v[19:20], 1.0
	v_rcp_f64_e32 v[23:24], v[21:22]
	v_fma_f64 v[25:26], -v[21:22], v[23:24], 1.0
	v_fma_f64 v[23:24], v[23:24], v[25:26], v[23:24]
	v_div_scale_f64 v[25:26], vcc, 1.0, v[19:20], 1.0
	v_fma_f64 v[27:28], -v[21:22], v[23:24], 1.0
	v_fma_f64 v[23:24], v[23:24], v[27:28], v[23:24]
	v_mul_f64 v[27:28], v[25:26], v[23:24]
	v_fma_f64 v[21:22], -v[21:22], v[27:28], v[25:26]
	v_div_fmas_f64 v[21:22], v[21:22], v[23:24], v[27:28]
	s_waitcnt vmcnt(0)
	v_mul_f64 v[23:24], v[6:7], v[2:3]
	v_mul_f64 v[6:7], v[6:7], -v[0:1]
	v_fma_f64 v[0:1], v[0:1], v[4:5], v[23:24]
	v_fma_f64 v[2:3], v[2:3], v[4:5], v[6:7]
	v_div_fixup_f64 v[19:20], v[21:22], v[19:20], 1.0
	v_mul_f64 v[0:1], v[19:20], v[0:1]
	v_mul_f64 v[2:3], v[19:20], v[2:3]
	global_store_dwordx4 v[12:13], v[0:3], off offset:-16
.LBB91_30:
	s_or_b64 exec, exec, s[6:7]
	v_cmp_gt_i32_e32 vcc, s27, v11
	s_and_saveexec_b64 s[6:7], vcc
	s_cbranch_execz .LBB91_35
; %bb.31:
	v_add_u32_e32 v4, s27, v15
	v_mul_lo_u32 v6, v4, s33
	s_mov_b64 s[24:25], 0
	v_mov_b32_e32 v7, v17
	v_mov_b32_e32 v12, v11
	s_branch .LBB91_33
.LBB91_32:                              ;   in Loop: Header=BB91_33 Depth=1
	v_ashrrev_i32_e32 v5, 31, v4
	v_lshlrev_b64 v[4:5], 4, v[4:5]
	v_mov_b32_e32 v13, s13
	v_add_co_u32_e32 v4, vcc, s12, v4
	v_addc_co_u32_e32 v5, vcc, v13, v5, vcc
	global_load_dwordx4 v[19:22], v[4:5], off
	v_add_u32_e32 v4, v14, v12
	v_ashrrev_i32_e32 v5, 31, v4
	v_lshlrev_b64 v[4:5], 4, v[4:5]
	v_mov_b32_e32 v13, s9
	v_add_co_u32_e32 v4, vcc, s8, v4
	v_addc_co_u32_e32 v5, vcc, v13, v5, vcc
	global_load_dwordx4 v[23:26], v[4:5], off
	v_add_u32_e32 v12, 32, v12
	v_cmp_le_i32_e32 vcc, s27, v12
	s_or_b64 s[24:25], vcc, s[24:25]
	v_add_u32_e32 v7, s17, v7
	s_waitcnt vmcnt(1)
	v_mul_f64 v[27:28], v[21:22], -v[2:3]
	v_mul_f64 v[21:22], v[0:1], v[21:22]
	v_fma_f64 v[27:28], v[0:1], v[19:20], v[27:28]
	v_fma_f64 v[21:22], v[2:3], v[19:20], v[21:22]
	s_waitcnt vmcnt(0)
	v_add_f64 v[19:20], v[23:24], -v[27:28]
	v_add_f64 v[21:22], v[25:26], -v[21:22]
	global_store_dwordx4 v[4:5], v[19:22], off
	s_andn2_b64 exec, exec, s[24:25]
	s_cbranch_execz .LBB91_35
.LBB91_33:                              ; =>This Inner Loop Header: Depth=1
	s_andn2_b64 vcc, exec, s[18:19]
	v_mov_b32_e32 v4, v7
	s_cbranch_vccnz .LBB91_32
; %bb.34:                               ;   in Loop: Header=BB91_33 Depth=1
	v_add_u32_e32 v4, v12, v6
	s_branch .LBB91_32
.LBB91_35:
	s_or_b64 exec, exec, s[6:7]
; %bb.36:
	s_cmp_lt_i32 s26, 2
	v_add_u32_e32 v17, -1, v17
	s_cbranch_scc1 .LBB91_38
; %bb.37:
	s_mov_b64 s[24:25], s[22:23]
	s_mov_b32 s26, s27
	s_and_b64 vcc, exec, s[4:5]
	s_add_i32 s27, s26, -1
	s_cbranch_vccnz .LBB91_26
	s_branch .LBB91_27
.LBB91_38:
	s_and_b64 s[4:5], s[22:23], exec
.LBB91_39:
	s_or_b64 exec, exec, s[20:21]
	v_cmp_eq_u32_e32 vcc, 0, v11
	s_and_b64 exec, exec, vcc
	s_cbranch_execz .LBB91_45
; %bb.40:
	s_waitcnt vmcnt(0)
	v_mov_b32_e32 v1, s11
	v_add_co_u32_e32 v0, vcc, s10, v9
	v_addc_co_u32_e32 v1, vcc, v1, v10, vcc
	v_mov_b32_e32 v2, 1
	global_store_dword v[0:1], v2, off
	s_and_b64 exec, exec, s[4:5]
	s_cbranch_execz .LBB91_45
; %bb.41:
	s_mov_b64 s[4:5], exec
	v_add_u32_e32 v0, s16, v8
	s_brev_b32 s6, -2
.LBB91_42:                              ; =>This Inner Loop Header: Depth=1
	s_ff1_i32_b64 s7, s[4:5]
	v_readlane_b32 s10, v0, s7
	s_lshl_b64 s[8:9], 1, s7
	s_min_i32 s6, s6, s10
	s_andn2_b64 s[4:5], s[4:5], s[8:9]
	s_cmp_lg_u64 s[4:5], 0
	s_cbranch_scc1 .LBB91_42
; %bb.43:
	v_mbcnt_lo_u32_b32 v0, exec_lo, 0
	v_mbcnt_hi_u32_b32 v0, exec_hi, v0
	v_cmp_eq_u32_e32 vcc, 0, v0
	s_and_saveexec_b64 s[4:5], vcc
	s_xor_b64 s[4:5], exec, s[4:5]
	s_cbranch_execz .LBB91_45
; %bb.44:
	v_mov_b32_e32 v0, 0
	v_mov_b32_e32 v1, s6
	global_atomic_smin v0, v1, s[14:15]
.LBB91_45:
	s_endpgm
	.section	.rodata,"a",@progbits
	.p2align	6, 0x0
	.amdhsa_kernel _ZN9rocsparseL19bsrsv_upper_generalILj128ELj32ELb0E21rocsparse_complex_numIdEEEviNS_24const_host_device_scalarIT2_EEPKiS7_PKS4_iS9_PS4_PiSB_SB_21rocsparse_index_base_20rocsparse_diag_type_20rocsparse_direction_b
		.amdhsa_group_segment_fixed_size 0
		.amdhsa_private_segment_fixed_size 16
		.amdhsa_kernarg_size 112
		.amdhsa_user_sgpr_count 8
		.amdhsa_user_sgpr_private_segment_buffer 1
		.amdhsa_user_sgpr_dispatch_ptr 0
		.amdhsa_user_sgpr_queue_ptr 0
		.amdhsa_user_sgpr_kernarg_segment_ptr 1
		.amdhsa_user_sgpr_dispatch_id 0
		.amdhsa_user_sgpr_flat_scratch_init 1
		.amdhsa_user_sgpr_private_segment_size 0
		.amdhsa_uses_dynamic_stack 0
		.amdhsa_system_sgpr_private_segment_wavefront_offset 1
		.amdhsa_system_sgpr_workgroup_id_x 1
		.amdhsa_system_sgpr_workgroup_id_y 0
		.amdhsa_system_sgpr_workgroup_id_z 0
		.amdhsa_system_sgpr_workgroup_info 0
		.amdhsa_system_vgpr_workitem_id 0
		.amdhsa_next_free_vgpr 29
		.amdhsa_next_free_sgpr 39
		.amdhsa_reserve_vcc 1
		.amdhsa_reserve_flat_scratch 1
		.amdhsa_float_round_mode_32 0
		.amdhsa_float_round_mode_16_64 0
		.amdhsa_float_denorm_mode_32 3
		.amdhsa_float_denorm_mode_16_64 3
		.amdhsa_dx10_clamp 1
		.amdhsa_ieee_mode 1
		.amdhsa_fp16_overflow 0
		.amdhsa_exception_fp_ieee_invalid_op 0
		.amdhsa_exception_fp_denorm_src 0
		.amdhsa_exception_fp_ieee_div_zero 0
		.amdhsa_exception_fp_ieee_overflow 0
		.amdhsa_exception_fp_ieee_underflow 0
		.amdhsa_exception_fp_ieee_inexact 0
		.amdhsa_exception_int_div_zero 0
	.end_amdhsa_kernel
	.section	.text._ZN9rocsparseL19bsrsv_upper_generalILj128ELj32ELb0E21rocsparse_complex_numIdEEEviNS_24const_host_device_scalarIT2_EEPKiS7_PKS4_iS9_PS4_PiSB_SB_21rocsparse_index_base_20rocsparse_diag_type_20rocsparse_direction_b,"axG",@progbits,_ZN9rocsparseL19bsrsv_upper_generalILj128ELj32ELb0E21rocsparse_complex_numIdEEEviNS_24const_host_device_scalarIT2_EEPKiS7_PKS4_iS9_PS4_PiSB_SB_21rocsparse_index_base_20rocsparse_diag_type_20rocsparse_direction_b,comdat
.Lfunc_end91:
	.size	_ZN9rocsparseL19bsrsv_upper_generalILj128ELj32ELb0E21rocsparse_complex_numIdEEEviNS_24const_host_device_scalarIT2_EEPKiS7_PKS4_iS9_PS4_PiSB_SB_21rocsparse_index_base_20rocsparse_diag_type_20rocsparse_direction_b, .Lfunc_end91-_ZN9rocsparseL19bsrsv_upper_generalILj128ELj32ELb0E21rocsparse_complex_numIdEEEviNS_24const_host_device_scalarIT2_EEPKiS7_PKS4_iS9_PS4_PiSB_SB_21rocsparse_index_base_20rocsparse_diag_type_20rocsparse_direction_b
                                        ; -- End function
	.set _ZN9rocsparseL19bsrsv_upper_generalILj128ELj32ELb0E21rocsparse_complex_numIdEEEviNS_24const_host_device_scalarIT2_EEPKiS7_PKS4_iS9_PS4_PiSB_SB_21rocsparse_index_base_20rocsparse_diag_type_20rocsparse_direction_b.num_vgpr, 29
	.set _ZN9rocsparseL19bsrsv_upper_generalILj128ELj32ELb0E21rocsparse_complex_numIdEEEviNS_24const_host_device_scalarIT2_EEPKiS7_PKS4_iS9_PS4_PiSB_SB_21rocsparse_index_base_20rocsparse_diag_type_20rocsparse_direction_b.num_agpr, 0
	.set _ZN9rocsparseL19bsrsv_upper_generalILj128ELj32ELb0E21rocsparse_complex_numIdEEEviNS_24const_host_device_scalarIT2_EEPKiS7_PKS4_iS9_PS4_PiSB_SB_21rocsparse_index_base_20rocsparse_diag_type_20rocsparse_direction_b.numbered_sgpr, 39
	.set _ZN9rocsparseL19bsrsv_upper_generalILj128ELj32ELb0E21rocsparse_complex_numIdEEEviNS_24const_host_device_scalarIT2_EEPKiS7_PKS4_iS9_PS4_PiSB_SB_21rocsparse_index_base_20rocsparse_diag_type_20rocsparse_direction_b.num_named_barrier, 0
	.set _ZN9rocsparseL19bsrsv_upper_generalILj128ELj32ELb0E21rocsparse_complex_numIdEEEviNS_24const_host_device_scalarIT2_EEPKiS7_PKS4_iS9_PS4_PiSB_SB_21rocsparse_index_base_20rocsparse_diag_type_20rocsparse_direction_b.private_seg_size, 16
	.set _ZN9rocsparseL19bsrsv_upper_generalILj128ELj32ELb0E21rocsparse_complex_numIdEEEviNS_24const_host_device_scalarIT2_EEPKiS7_PKS4_iS9_PS4_PiSB_SB_21rocsparse_index_base_20rocsparse_diag_type_20rocsparse_direction_b.uses_vcc, 1
	.set _ZN9rocsparseL19bsrsv_upper_generalILj128ELj32ELb0E21rocsparse_complex_numIdEEEviNS_24const_host_device_scalarIT2_EEPKiS7_PKS4_iS9_PS4_PiSB_SB_21rocsparse_index_base_20rocsparse_diag_type_20rocsparse_direction_b.uses_flat_scratch, 1
	.set _ZN9rocsparseL19bsrsv_upper_generalILj128ELj32ELb0E21rocsparse_complex_numIdEEEviNS_24const_host_device_scalarIT2_EEPKiS7_PKS4_iS9_PS4_PiSB_SB_21rocsparse_index_base_20rocsparse_diag_type_20rocsparse_direction_b.has_dyn_sized_stack, 0
	.set _ZN9rocsparseL19bsrsv_upper_generalILj128ELj32ELb0E21rocsparse_complex_numIdEEEviNS_24const_host_device_scalarIT2_EEPKiS7_PKS4_iS9_PS4_PiSB_SB_21rocsparse_index_base_20rocsparse_diag_type_20rocsparse_direction_b.has_recursion, 0
	.set _ZN9rocsparseL19bsrsv_upper_generalILj128ELj32ELb0E21rocsparse_complex_numIdEEEviNS_24const_host_device_scalarIT2_EEPKiS7_PKS4_iS9_PS4_PiSB_SB_21rocsparse_index_base_20rocsparse_diag_type_20rocsparse_direction_b.has_indirect_call, 0
	.section	.AMDGPU.csdata,"",@progbits
; Kernel info:
; codeLenInByte = 1896
; TotalNumSgprs: 45
; NumVgprs: 29
; ScratchSize: 16
; MemoryBound: 0
; FloatMode: 240
; IeeeMode: 1
; LDSByteSize: 0 bytes/workgroup (compile time only)
; SGPRBlocks: 5
; VGPRBlocks: 7
; NumSGPRsForWavesPerEU: 45
; NumVGPRsForWavesPerEU: 29
; Occupancy: 8
; WaveLimiterHint : 1
; COMPUTE_PGM_RSRC2:SCRATCH_EN: 1
; COMPUTE_PGM_RSRC2:USER_SGPR: 8
; COMPUTE_PGM_RSRC2:TRAP_HANDLER: 0
; COMPUTE_PGM_RSRC2:TGID_X_EN: 1
; COMPUTE_PGM_RSRC2:TGID_Y_EN: 0
; COMPUTE_PGM_RSRC2:TGID_Z_EN: 0
; COMPUTE_PGM_RSRC2:TIDIG_COMP_CNT: 0
	.section	.AMDGPU.gpr_maximums,"",@progbits
	.set amdgpu.max_num_vgpr, 0
	.set amdgpu.max_num_agpr, 0
	.set amdgpu.max_num_sgpr, 0
	.section	.AMDGPU.csdata,"",@progbits
	.type	__hip_cuid_d0092502a49ab2c2,@object ; @__hip_cuid_d0092502a49ab2c2
	.section	.bss,"aw",@nobits
	.globl	__hip_cuid_d0092502a49ab2c2
__hip_cuid_d0092502a49ab2c2:
	.byte	0                               ; 0x0
	.size	__hip_cuid_d0092502a49ab2c2, 1

	.ident	"AMD clang version 22.0.0git (https://github.com/RadeonOpenCompute/llvm-project roc-7.2.4 26084 f58b06dce1f9c15707c5f808fd002e18c2accf7e)"
	.section	".note.GNU-stack","",@progbits
	.addrsig
	.addrsig_sym __hip_cuid_d0092502a49ab2c2
	.amdgpu_metadata
---
amdhsa.kernels:
  - .args:
      - .offset:         0
        .size:           4
        .value_kind:     by_value
      - .offset:         4
        .size:           4
        .value_kind:     by_value
      - .actual_access:  read_only
        .address_space:  global
        .offset:         8
        .size:           8
        .value_kind:     global_buffer
      - .actual_access:  read_only
        .address_space:  global
        .offset:         16
        .size:           8
        .value_kind:     global_buffer
      - .actual_access:  write_only
        .address_space:  global
        .offset:         24
        .size:           8
        .value_kind:     global_buffer
      - .offset:         32
        .size:           4
        .value_kind:     by_value
    .group_segment_fixed_size: 0
    .kernarg_segment_align: 8
    .kernarg_segment_size: 36
    .language:       OpenCL C
    .language_version:
      - 2
      - 0
    .max_flat_workgroup_size: 256
    .name:           _ZN9rocsparseL10bsr_gatherILj4ELj64ELj2EifEEv20rocsparse_direction_T2_PKS2_PKT3_PS5_S2_
    .private_segment_fixed_size: 0
    .sgpr_count:     22
    .sgpr_spill_count: 0
    .symbol:         _ZN9rocsparseL10bsr_gatherILj4ELj64ELj2EifEEv20rocsparse_direction_T2_PKS2_PKT3_PS5_S2_.kd
    .uniform_work_group_size: 1
    .uses_dynamic_stack: false
    .vgpr_count:     11
    .vgpr_spill_count: 0
    .wavefront_size: 64
  - .args:
      - .offset:         0
        .size:           4
        .value_kind:     by_value
      - .offset:         4
        .size:           4
        .value_kind:     by_value
      - .actual_access:  read_only
        .address_space:  global
        .offset:         8
        .size:           8
        .value_kind:     global_buffer
      - .actual_access:  read_only
        .address_space:  global
        .offset:         16
        .size:           8
        .value_kind:     global_buffer
      - .actual_access:  write_only
        .address_space:  global
        .offset:         24
        .size:           8
        .value_kind:     global_buffer
      - .offset:         32
        .size:           4
        .value_kind:     by_value
    .group_segment_fixed_size: 0
    .kernarg_segment_align: 8
    .kernarg_segment_size: 36
    .language:       OpenCL C
    .language_version:
      - 2
      - 0
    .max_flat_workgroup_size: 256
    .name:           _ZN9rocsparseL10bsr_gatherILj16ELj16ELj4EifEEv20rocsparse_direction_T2_PKS2_PKT3_PS5_S2_
    .private_segment_fixed_size: 0
    .sgpr_count:     22
    .sgpr_spill_count: 0
    .symbol:         _ZN9rocsparseL10bsr_gatherILj16ELj16ELj4EifEEv20rocsparse_direction_T2_PKS2_PKT3_PS5_S2_.kd
    .uniform_work_group_size: 1
    .uses_dynamic_stack: false
    .vgpr_count:     11
    .vgpr_spill_count: 0
    .wavefront_size: 64
  - .args:
      - .offset:         0
        .size:           4
        .value_kind:     by_value
      - .offset:         4
        .size:           4
        .value_kind:     by_value
      - .actual_access:  read_only
        .address_space:  global
        .offset:         8
        .size:           8
        .value_kind:     global_buffer
      - .actual_access:  read_only
        .address_space:  global
        .offset:         16
        .size:           8
        .value_kind:     global_buffer
      - .actual_access:  write_only
        .address_space:  global
        .offset:         24
        .size:           8
        .value_kind:     global_buffer
      - .offset:         32
        .size:           4
        .value_kind:     by_value
    .group_segment_fixed_size: 0
    .kernarg_segment_align: 8
    .kernarg_segment_size: 36
    .language:       OpenCL C
    .language_version:
      - 2
      - 0
    .max_flat_workgroup_size: 256
    .name:           _ZN9rocsparseL10bsr_gatherILj64ELj4ELj8EifEEv20rocsparse_direction_T2_PKS2_PKT3_PS5_S2_
    .private_segment_fixed_size: 0
    .sgpr_count:     22
    .sgpr_spill_count: 0
    .symbol:         _ZN9rocsparseL10bsr_gatherILj64ELj4ELj8EifEEv20rocsparse_direction_T2_PKS2_PKT3_PS5_S2_.kd
    .uniform_work_group_size: 1
    .uses_dynamic_stack: false
    .vgpr_count:     11
    .vgpr_spill_count: 0
    .wavefront_size: 64
  - .args:
      - .offset:         0
        .size:           4
        .value_kind:     by_value
      - .offset:         8
        .size:           8
        .value_kind:     by_value
      - .actual_access:  read_only
        .address_space:  global
        .offset:         16
        .size:           8
        .value_kind:     global_buffer
      - .actual_access:  read_only
        .address_space:  global
        .offset:         24
        .size:           8
        .value_kind:     global_buffer
      - .actual_access:  read_only
        .address_space:  global
        .offset:         32
        .size:           8
        .value_kind:     global_buffer
      - .offset:         40
        .size:           4
        .value_kind:     by_value
      - .actual_access:  read_only
        .address_space:  global
        .offset:         48
        .size:           8
        .value_kind:     global_buffer
      - .address_space:  global
        .offset:         56
        .size:           8
        .value_kind:     global_buffer
      - .address_space:  global
        .offset:         64
        .size:           8
        .value_kind:     global_buffer
      - .actual_access:  read_only
        .address_space:  global
        .offset:         72
        .size:           8
        .value_kind:     global_buffer
      - .address_space:  global
        .offset:         80
        .size:           8
        .value_kind:     global_buffer
      - .offset:         88
        .size:           4
        .value_kind:     by_value
      - .offset:         92
        .size:           4
        .value_kind:     by_value
      - .offset:         96
        .size:           4
        .value_kind:     by_value
      - .offset:         100
        .size:           1
        .value_kind:     by_value
    .group_segment_fixed_size: 576
    .kernarg_segment_align: 8
    .kernarg_segment_size: 104
    .language:       OpenCL C
    .language_version:
      - 2
      - 0
    .max_flat_workgroup_size: 128
    .name:           _ZN9rocsparseL18bsrsv_lower_sharedILj128ELj64ELi8ELb1EfEEviNS_24const_host_device_scalarIT3_EEPKiS5_PKS2_iS7_PS2_PiS9_S9_21rocsparse_index_base_20rocsparse_diag_type_20rocsparse_direction_b
    .private_segment_fixed_size: 0
    .sgpr_count:     38
    .sgpr_spill_count: 0
    .symbol:         _ZN9rocsparseL18bsrsv_lower_sharedILj128ELj64ELi8ELb1EfEEviNS_24const_host_device_scalarIT3_EEPKiS5_PKS2_iS7_PS2_PiS9_S9_21rocsparse_index_base_20rocsparse_diag_type_20rocsparse_direction_b.kd
    .uniform_work_group_size: 1
    .uses_dynamic_stack: false
    .vgpr_count:     31
    .vgpr_spill_count: 0
    .wavefront_size: 64
  - .args:
      - .offset:         0
        .size:           4
        .value_kind:     by_value
      - .offset:         8
        .size:           8
        .value_kind:     by_value
      - .actual_access:  read_only
        .address_space:  global
        .offset:         16
        .size:           8
        .value_kind:     global_buffer
      - .actual_access:  read_only
        .address_space:  global
        .offset:         24
        .size:           8
        .value_kind:     global_buffer
      - .actual_access:  read_only
        .address_space:  global
        .offset:         32
        .size:           8
        .value_kind:     global_buffer
      - .offset:         40
        .size:           4
        .value_kind:     by_value
      - .actual_access:  read_only
        .address_space:  global
        .offset:         48
        .size:           8
        .value_kind:     global_buffer
      - .address_space:  global
        .offset:         56
        .size:           8
        .value_kind:     global_buffer
      - .address_space:  global
        .offset:         64
        .size:           8
        .value_kind:     global_buffer
      - .actual_access:  read_only
        .address_space:  global
        .offset:         72
        .size:           8
        .value_kind:     global_buffer
      - .address_space:  global
        .offset:         80
        .size:           8
        .value_kind:     global_buffer
      - .offset:         88
        .size:           4
        .value_kind:     by_value
      - .offset:         92
        .size:           4
        .value_kind:     by_value
      - .offset:         96
        .size:           4
        .value_kind:     by_value
      - .offset:         100
        .size:           1
        .value_kind:     by_value
    .group_segment_fixed_size: 576
    .kernarg_segment_align: 8
    .kernarg_segment_size: 104
    .language:       OpenCL C
    .language_version:
      - 2
      - 0
    .max_flat_workgroup_size: 128
    .name:           _ZN9rocsparseL18bsrsv_lower_sharedILj128ELj64ELi8ELb0EfEEviNS_24const_host_device_scalarIT3_EEPKiS5_PKS2_iS7_PS2_PiS9_S9_21rocsparse_index_base_20rocsparse_diag_type_20rocsparse_direction_b
    .private_segment_fixed_size: 0
    .sgpr_count:     38
    .sgpr_spill_count: 0
    .symbol:         _ZN9rocsparseL18bsrsv_lower_sharedILj128ELj64ELi8ELb0EfEEviNS_24const_host_device_scalarIT3_EEPKiS5_PKS2_iS7_PS2_PiS9_S9_21rocsparse_index_base_20rocsparse_diag_type_20rocsparse_direction_b.kd
    .uniform_work_group_size: 1
    .uses_dynamic_stack: false
    .vgpr_count:     31
    .vgpr_spill_count: 0
    .wavefront_size: 64
  - .args:
      - .offset:         0
        .size:           4
        .value_kind:     by_value
      - .offset:         8
        .size:           8
        .value_kind:     by_value
      - .actual_access:  read_only
        .address_space:  global
        .offset:         16
        .size:           8
        .value_kind:     global_buffer
      - .actual_access:  read_only
        .address_space:  global
        .offset:         24
        .size:           8
        .value_kind:     global_buffer
      - .actual_access:  read_only
        .address_space:  global
        .offset:         32
        .size:           8
        .value_kind:     global_buffer
      - .offset:         40
        .size:           4
        .value_kind:     by_value
      - .actual_access:  read_only
        .address_space:  global
        .offset:         48
        .size:           8
        .value_kind:     global_buffer
      - .address_space:  global
        .offset:         56
        .size:           8
        .value_kind:     global_buffer
      - .address_space:  global
        .offset:         64
        .size:           8
        .value_kind:     global_buffer
      - .actual_access:  read_only
        .address_space:  global
        .offset:         72
        .size:           8
        .value_kind:     global_buffer
      - .address_space:  global
        .offset:         80
        .size:           8
        .value_kind:     global_buffer
      - .offset:         88
        .size:           4
        .value_kind:     by_value
      - .offset:         92
        .size:           4
        .value_kind:     by_value
      - .offset:         96
        .size:           4
        .value_kind:     by_value
      - .offset:         100
        .size:           1
        .value_kind:     by_value
    .group_segment_fixed_size: 576
    .kernarg_segment_align: 8
    .kernarg_segment_size: 104
    .language:       OpenCL C
    .language_version:
      - 2
      - 0
    .max_flat_workgroup_size: 128
    .name:           _ZN9rocsparseL18bsrsv_upper_sharedILj128ELj64ELi8ELb1EfEEviNS_24const_host_device_scalarIT3_EEPKiS5_PKS2_iS7_PS2_PiS9_S9_21rocsparse_index_base_20rocsparse_diag_type_20rocsparse_direction_b
    .private_segment_fixed_size: 0
    .sgpr_count:     38
    .sgpr_spill_count: 0
    .symbol:         _ZN9rocsparseL18bsrsv_upper_sharedILj128ELj64ELi8ELb1EfEEviNS_24const_host_device_scalarIT3_EEPKiS5_PKS2_iS7_PS2_PiS9_S9_21rocsparse_index_base_20rocsparse_diag_type_20rocsparse_direction_b.kd
    .uniform_work_group_size: 1
    .uses_dynamic_stack: false
    .vgpr_count:     32
    .vgpr_spill_count: 0
    .wavefront_size: 64
  - .args:
      - .offset:         0
        .size:           4
        .value_kind:     by_value
      - .offset:         8
        .size:           8
        .value_kind:     by_value
      - .actual_access:  read_only
        .address_space:  global
        .offset:         16
        .size:           8
        .value_kind:     global_buffer
      - .actual_access:  read_only
        .address_space:  global
        .offset:         24
        .size:           8
        .value_kind:     global_buffer
      - .actual_access:  read_only
        .address_space:  global
        .offset:         32
        .size:           8
        .value_kind:     global_buffer
      - .offset:         40
        .size:           4
        .value_kind:     by_value
      - .actual_access:  read_only
        .address_space:  global
        .offset:         48
        .size:           8
        .value_kind:     global_buffer
      - .address_space:  global
        .offset:         56
        .size:           8
        .value_kind:     global_buffer
      - .address_space:  global
        .offset:         64
        .size:           8
        .value_kind:     global_buffer
      - .actual_access:  read_only
        .address_space:  global
        .offset:         72
        .size:           8
        .value_kind:     global_buffer
      - .address_space:  global
        .offset:         80
        .size:           8
        .value_kind:     global_buffer
      - .offset:         88
        .size:           4
        .value_kind:     by_value
      - .offset:         92
        .size:           4
        .value_kind:     by_value
      - .offset:         96
        .size:           4
        .value_kind:     by_value
      - .offset:         100
        .size:           1
        .value_kind:     by_value
    .group_segment_fixed_size: 576
    .kernarg_segment_align: 8
    .kernarg_segment_size: 104
    .language:       OpenCL C
    .language_version:
      - 2
      - 0
    .max_flat_workgroup_size: 128
    .name:           _ZN9rocsparseL18bsrsv_upper_sharedILj128ELj64ELi8ELb0EfEEviNS_24const_host_device_scalarIT3_EEPKiS5_PKS2_iS7_PS2_PiS9_S9_21rocsparse_index_base_20rocsparse_diag_type_20rocsparse_direction_b
    .private_segment_fixed_size: 0
    .sgpr_count:     38
    .sgpr_spill_count: 0
    .symbol:         _ZN9rocsparseL18bsrsv_upper_sharedILj128ELj64ELi8ELb0EfEEviNS_24const_host_device_scalarIT3_EEPKiS5_PKS2_iS7_PS2_PiS9_S9_21rocsparse_index_base_20rocsparse_diag_type_20rocsparse_direction_b.kd
    .uniform_work_group_size: 1
    .uses_dynamic_stack: false
    .vgpr_count:     32
    .vgpr_spill_count: 0
    .wavefront_size: 64
  - .args:
      - .offset:         0
        .size:           4
        .value_kind:     by_value
      - .offset:         8
        .size:           8
        .value_kind:     by_value
      - .actual_access:  read_only
        .address_space:  global
        .offset:         16
        .size:           8
        .value_kind:     global_buffer
      - .actual_access:  read_only
        .address_space:  global
        .offset:         24
        .size:           8
        .value_kind:     global_buffer
      - .actual_access:  read_only
        .address_space:  global
        .offset:         32
        .size:           8
        .value_kind:     global_buffer
      - .offset:         40
        .size:           4
        .value_kind:     by_value
      - .actual_access:  read_only
        .address_space:  global
        .offset:         48
        .size:           8
        .value_kind:     global_buffer
      - .address_space:  global
        .offset:         56
        .size:           8
        .value_kind:     global_buffer
      - .address_space:  global
        .offset:         64
        .size:           8
        .value_kind:     global_buffer
      - .actual_access:  read_only
        .address_space:  global
        .offset:         72
        .size:           8
        .value_kind:     global_buffer
      - .address_space:  global
        .offset:         80
        .size:           8
        .value_kind:     global_buffer
      - .offset:         88
        .size:           4
        .value_kind:     by_value
      - .offset:         92
        .size:           4
        .value_kind:     by_value
      - .offset:         96
        .size:           4
        .value_kind:     by_value
      - .offset:         100
        .size:           1
        .value_kind:     by_value
    .group_segment_fixed_size: 2176
    .kernarg_segment_align: 8
    .kernarg_segment_size: 104
    .language:       OpenCL C
    .language_version:
      - 2
      - 0
    .max_flat_workgroup_size: 128
    .name:           _ZN9rocsparseL18bsrsv_lower_sharedILj128ELj64ELi16ELb1EfEEviNS_24const_host_device_scalarIT3_EEPKiS5_PKS2_iS7_PS2_PiS9_S9_21rocsparse_index_base_20rocsparse_diag_type_20rocsparse_direction_b
    .private_segment_fixed_size: 0
    .sgpr_count:     39
    .sgpr_spill_count: 0
    .symbol:         _ZN9rocsparseL18bsrsv_lower_sharedILj128ELj64ELi16ELb1EfEEviNS_24const_host_device_scalarIT3_EEPKiS5_PKS2_iS7_PS2_PiS9_S9_21rocsparse_index_base_20rocsparse_diag_type_20rocsparse_direction_b.kd
    .uniform_work_group_size: 1
    .uses_dynamic_stack: false
    .vgpr_count:     39
    .vgpr_spill_count: 0
    .wavefront_size: 64
  - .args:
      - .offset:         0
        .size:           4
        .value_kind:     by_value
      - .offset:         8
        .size:           8
        .value_kind:     by_value
      - .actual_access:  read_only
        .address_space:  global
        .offset:         16
        .size:           8
        .value_kind:     global_buffer
      - .actual_access:  read_only
        .address_space:  global
        .offset:         24
        .size:           8
        .value_kind:     global_buffer
      - .actual_access:  read_only
        .address_space:  global
        .offset:         32
        .size:           8
        .value_kind:     global_buffer
      - .offset:         40
        .size:           4
        .value_kind:     by_value
      - .actual_access:  read_only
        .address_space:  global
        .offset:         48
        .size:           8
        .value_kind:     global_buffer
      - .address_space:  global
        .offset:         56
        .size:           8
        .value_kind:     global_buffer
      - .address_space:  global
        .offset:         64
        .size:           8
        .value_kind:     global_buffer
      - .actual_access:  read_only
        .address_space:  global
        .offset:         72
        .size:           8
        .value_kind:     global_buffer
      - .address_space:  global
        .offset:         80
        .size:           8
        .value_kind:     global_buffer
      - .offset:         88
        .size:           4
        .value_kind:     by_value
      - .offset:         92
        .size:           4
        .value_kind:     by_value
      - .offset:         96
        .size:           4
        .value_kind:     by_value
      - .offset:         100
        .size:           1
        .value_kind:     by_value
    .group_segment_fixed_size: 2176
    .kernarg_segment_align: 8
    .kernarg_segment_size: 104
    .language:       OpenCL C
    .language_version:
      - 2
      - 0
    .max_flat_workgroup_size: 128
    .name:           _ZN9rocsparseL18bsrsv_lower_sharedILj128ELj64ELi16ELb0EfEEviNS_24const_host_device_scalarIT3_EEPKiS5_PKS2_iS7_PS2_PiS9_S9_21rocsparse_index_base_20rocsparse_diag_type_20rocsparse_direction_b
    .private_segment_fixed_size: 0
    .sgpr_count:     39
    .sgpr_spill_count: 0
    .symbol:         _ZN9rocsparseL18bsrsv_lower_sharedILj128ELj64ELi16ELb0EfEEviNS_24const_host_device_scalarIT3_EEPKiS5_PKS2_iS7_PS2_PiS9_S9_21rocsparse_index_base_20rocsparse_diag_type_20rocsparse_direction_b.kd
    .uniform_work_group_size: 1
    .uses_dynamic_stack: false
    .vgpr_count:     39
    .vgpr_spill_count: 0
    .wavefront_size: 64
  - .args:
      - .offset:         0
        .size:           4
        .value_kind:     by_value
      - .offset:         8
        .size:           8
        .value_kind:     by_value
      - .actual_access:  read_only
        .address_space:  global
        .offset:         16
        .size:           8
        .value_kind:     global_buffer
      - .actual_access:  read_only
        .address_space:  global
        .offset:         24
        .size:           8
        .value_kind:     global_buffer
      - .actual_access:  read_only
        .address_space:  global
        .offset:         32
        .size:           8
        .value_kind:     global_buffer
      - .offset:         40
        .size:           4
        .value_kind:     by_value
      - .actual_access:  read_only
        .address_space:  global
        .offset:         48
        .size:           8
        .value_kind:     global_buffer
      - .address_space:  global
        .offset:         56
        .size:           8
        .value_kind:     global_buffer
      - .address_space:  global
        .offset:         64
        .size:           8
        .value_kind:     global_buffer
      - .actual_access:  read_only
        .address_space:  global
        .offset:         72
        .size:           8
        .value_kind:     global_buffer
      - .address_space:  global
        .offset:         80
        .size:           8
        .value_kind:     global_buffer
      - .offset:         88
        .size:           4
        .value_kind:     by_value
      - .offset:         92
        .size:           4
        .value_kind:     by_value
      - .offset:         96
        .size:           4
        .value_kind:     by_value
      - .offset:         100
        .size:           1
        .value_kind:     by_value
    .group_segment_fixed_size: 2176
    .kernarg_segment_align: 8
    .kernarg_segment_size: 104
    .language:       OpenCL C
    .language_version:
      - 2
      - 0
    .max_flat_workgroup_size: 128
    .name:           _ZN9rocsparseL18bsrsv_upper_sharedILj128ELj64ELi16ELb1EfEEviNS_24const_host_device_scalarIT3_EEPKiS5_PKS2_iS7_PS2_PiS9_S9_21rocsparse_index_base_20rocsparse_diag_type_20rocsparse_direction_b
    .private_segment_fixed_size: 0
    .sgpr_count:     39
    .sgpr_spill_count: 0
    .symbol:         _ZN9rocsparseL18bsrsv_upper_sharedILj128ELj64ELi16ELb1EfEEviNS_24const_host_device_scalarIT3_EEPKiS5_PKS2_iS7_PS2_PiS9_S9_21rocsparse_index_base_20rocsparse_diag_type_20rocsparse_direction_b.kd
    .uniform_work_group_size: 1
    .uses_dynamic_stack: false
    .vgpr_count:     40
    .vgpr_spill_count: 0
    .wavefront_size: 64
  - .args:
      - .offset:         0
        .size:           4
        .value_kind:     by_value
      - .offset:         8
        .size:           8
        .value_kind:     by_value
      - .actual_access:  read_only
        .address_space:  global
        .offset:         16
        .size:           8
        .value_kind:     global_buffer
      - .actual_access:  read_only
        .address_space:  global
        .offset:         24
        .size:           8
        .value_kind:     global_buffer
      - .actual_access:  read_only
        .address_space:  global
        .offset:         32
        .size:           8
        .value_kind:     global_buffer
      - .offset:         40
        .size:           4
        .value_kind:     by_value
      - .actual_access:  read_only
        .address_space:  global
        .offset:         48
        .size:           8
        .value_kind:     global_buffer
      - .address_space:  global
        .offset:         56
        .size:           8
        .value_kind:     global_buffer
      - .address_space:  global
        .offset:         64
        .size:           8
        .value_kind:     global_buffer
      - .actual_access:  read_only
        .address_space:  global
        .offset:         72
        .size:           8
        .value_kind:     global_buffer
      - .address_space:  global
        .offset:         80
        .size:           8
        .value_kind:     global_buffer
      - .offset:         88
        .size:           4
        .value_kind:     by_value
      - .offset:         92
        .size:           4
        .value_kind:     by_value
      - .offset:         96
        .size:           4
        .value_kind:     by_value
      - .offset:         100
        .size:           1
        .value_kind:     by_value
    .group_segment_fixed_size: 2176
    .kernarg_segment_align: 8
    .kernarg_segment_size: 104
    .language:       OpenCL C
    .language_version:
      - 2
      - 0
    .max_flat_workgroup_size: 128
    .name:           _ZN9rocsparseL18bsrsv_upper_sharedILj128ELj64ELi16ELb0EfEEviNS_24const_host_device_scalarIT3_EEPKiS5_PKS2_iS7_PS2_PiS9_S9_21rocsparse_index_base_20rocsparse_diag_type_20rocsparse_direction_b
    .private_segment_fixed_size: 0
    .sgpr_count:     39
    .sgpr_spill_count: 0
    .symbol:         _ZN9rocsparseL18bsrsv_upper_sharedILj128ELj64ELi16ELb0EfEEviNS_24const_host_device_scalarIT3_EEPKiS5_PKS2_iS7_PS2_PiS9_S9_21rocsparse_index_base_20rocsparse_diag_type_20rocsparse_direction_b.kd
    .uniform_work_group_size: 1
    .uses_dynamic_stack: false
    .vgpr_count:     40
    .vgpr_spill_count: 0
    .wavefront_size: 64
  - .args:
      - .offset:         0
        .size:           4
        .value_kind:     by_value
      - .offset:         8
        .size:           8
        .value_kind:     by_value
      - .actual_access:  read_only
        .address_space:  global
        .offset:         16
        .size:           8
        .value_kind:     global_buffer
      - .actual_access:  read_only
        .address_space:  global
        .offset:         24
        .size:           8
        .value_kind:     global_buffer
      - .actual_access:  read_only
        .address_space:  global
        .offset:         32
        .size:           8
        .value_kind:     global_buffer
      - .offset:         40
        .size:           4
        .value_kind:     by_value
      - .actual_access:  read_only
        .address_space:  global
        .offset:         48
        .size:           8
        .value_kind:     global_buffer
      - .address_space:  global
        .offset:         56
        .size:           8
        .value_kind:     global_buffer
      - .address_space:  global
        .offset:         64
        .size:           8
        .value_kind:     global_buffer
      - .actual_access:  read_only
        .address_space:  global
        .offset:         72
        .size:           8
        .value_kind:     global_buffer
      - .address_space:  global
        .offset:         80
        .size:           8
        .value_kind:     global_buffer
      - .offset:         88
        .size:           4
        .value_kind:     by_value
      - .offset:         92
        .size:           4
        .value_kind:     by_value
      - .offset:         96
        .size:           4
        .value_kind:     by_value
      - .offset:         100
        .size:           1
        .value_kind:     by_value
    .group_segment_fixed_size: 8448
    .kernarg_segment_align: 8
    .kernarg_segment_size: 104
    .language:       OpenCL C
    .language_version:
      - 2
      - 0
    .max_flat_workgroup_size: 128
    .name:           _ZN9rocsparseL18bsrsv_lower_sharedILj128ELj64ELi32ELb1EfEEviNS_24const_host_device_scalarIT3_EEPKiS5_PKS2_iS7_PS2_PiS9_S9_21rocsparse_index_base_20rocsparse_diag_type_20rocsparse_direction_b
    .private_segment_fixed_size: 0
    .sgpr_count:     39
    .sgpr_spill_count: 0
    .symbol:         _ZN9rocsparseL18bsrsv_lower_sharedILj128ELj64ELi32ELb1EfEEviNS_24const_host_device_scalarIT3_EEPKiS5_PKS2_iS7_PS2_PiS9_S9_21rocsparse_index_base_20rocsparse_diag_type_20rocsparse_direction_b.kd
    .uniform_work_group_size: 1
    .uses_dynamic_stack: false
    .vgpr_count:     42
    .vgpr_spill_count: 0
    .wavefront_size: 64
  - .args:
      - .offset:         0
        .size:           4
        .value_kind:     by_value
      - .offset:         8
        .size:           8
        .value_kind:     by_value
      - .actual_access:  read_only
        .address_space:  global
        .offset:         16
        .size:           8
        .value_kind:     global_buffer
      - .actual_access:  read_only
        .address_space:  global
        .offset:         24
        .size:           8
        .value_kind:     global_buffer
      - .actual_access:  read_only
        .address_space:  global
        .offset:         32
        .size:           8
        .value_kind:     global_buffer
      - .offset:         40
        .size:           4
        .value_kind:     by_value
      - .actual_access:  read_only
        .address_space:  global
        .offset:         48
        .size:           8
        .value_kind:     global_buffer
      - .address_space:  global
        .offset:         56
        .size:           8
        .value_kind:     global_buffer
      - .address_space:  global
        .offset:         64
        .size:           8
        .value_kind:     global_buffer
      - .actual_access:  read_only
        .address_space:  global
        .offset:         72
        .size:           8
        .value_kind:     global_buffer
      - .address_space:  global
        .offset:         80
        .size:           8
        .value_kind:     global_buffer
      - .offset:         88
        .size:           4
        .value_kind:     by_value
      - .offset:         92
        .size:           4
        .value_kind:     by_value
      - .offset:         96
        .size:           4
        .value_kind:     by_value
      - .offset:         100
        .size:           1
        .value_kind:     by_value
    .group_segment_fixed_size: 8448
    .kernarg_segment_align: 8
    .kernarg_segment_size: 104
    .language:       OpenCL C
    .language_version:
      - 2
      - 0
    .max_flat_workgroup_size: 128
    .name:           _ZN9rocsparseL18bsrsv_lower_sharedILj128ELj64ELi32ELb0EfEEviNS_24const_host_device_scalarIT3_EEPKiS5_PKS2_iS7_PS2_PiS9_S9_21rocsparse_index_base_20rocsparse_diag_type_20rocsparse_direction_b
    .private_segment_fixed_size: 0
    .sgpr_count:     39
    .sgpr_spill_count: 0
    .symbol:         _ZN9rocsparseL18bsrsv_lower_sharedILj128ELj64ELi32ELb0EfEEviNS_24const_host_device_scalarIT3_EEPKiS5_PKS2_iS7_PS2_PiS9_S9_21rocsparse_index_base_20rocsparse_diag_type_20rocsparse_direction_b.kd
    .uniform_work_group_size: 1
    .uses_dynamic_stack: false
    .vgpr_count:     42
    .vgpr_spill_count: 0
    .wavefront_size: 64
  - .args:
      - .offset:         0
        .size:           4
        .value_kind:     by_value
      - .offset:         8
        .size:           8
        .value_kind:     by_value
      - .actual_access:  read_only
        .address_space:  global
        .offset:         16
        .size:           8
        .value_kind:     global_buffer
      - .actual_access:  read_only
        .address_space:  global
        .offset:         24
        .size:           8
        .value_kind:     global_buffer
      - .actual_access:  read_only
        .address_space:  global
        .offset:         32
        .size:           8
        .value_kind:     global_buffer
      - .offset:         40
        .size:           4
        .value_kind:     by_value
      - .actual_access:  read_only
        .address_space:  global
        .offset:         48
        .size:           8
        .value_kind:     global_buffer
      - .address_space:  global
        .offset:         56
        .size:           8
        .value_kind:     global_buffer
      - .address_space:  global
        .offset:         64
        .size:           8
        .value_kind:     global_buffer
      - .actual_access:  read_only
        .address_space:  global
        .offset:         72
        .size:           8
        .value_kind:     global_buffer
      - .address_space:  global
        .offset:         80
        .size:           8
        .value_kind:     global_buffer
      - .offset:         88
        .size:           4
        .value_kind:     by_value
      - .offset:         92
        .size:           4
        .value_kind:     by_value
      - .offset:         96
        .size:           4
        .value_kind:     by_value
      - .offset:         100
        .size:           1
        .value_kind:     by_value
    .group_segment_fixed_size: 8448
    .kernarg_segment_align: 8
    .kernarg_segment_size: 104
    .language:       OpenCL C
    .language_version:
      - 2
      - 0
    .max_flat_workgroup_size: 128
    .name:           _ZN9rocsparseL18bsrsv_upper_sharedILj128ELj64ELi32ELb1EfEEviNS_24const_host_device_scalarIT3_EEPKiS5_PKS2_iS7_PS2_PiS9_S9_21rocsparse_index_base_20rocsparse_diag_type_20rocsparse_direction_b
    .private_segment_fixed_size: 0
    .sgpr_count:     39
    .sgpr_spill_count: 0
    .symbol:         _ZN9rocsparseL18bsrsv_upper_sharedILj128ELj64ELi32ELb1EfEEviNS_24const_host_device_scalarIT3_EEPKiS5_PKS2_iS7_PS2_PiS9_S9_21rocsparse_index_base_20rocsparse_diag_type_20rocsparse_direction_b.kd
    .uniform_work_group_size: 1
    .uses_dynamic_stack: false
    .vgpr_count:     43
    .vgpr_spill_count: 0
    .wavefront_size: 64
  - .args:
      - .offset:         0
        .size:           4
        .value_kind:     by_value
      - .offset:         8
        .size:           8
        .value_kind:     by_value
      - .actual_access:  read_only
        .address_space:  global
        .offset:         16
        .size:           8
        .value_kind:     global_buffer
      - .actual_access:  read_only
        .address_space:  global
        .offset:         24
        .size:           8
        .value_kind:     global_buffer
      - .actual_access:  read_only
        .address_space:  global
        .offset:         32
        .size:           8
        .value_kind:     global_buffer
      - .offset:         40
        .size:           4
        .value_kind:     by_value
      - .actual_access:  read_only
        .address_space:  global
        .offset:         48
        .size:           8
        .value_kind:     global_buffer
      - .address_space:  global
        .offset:         56
        .size:           8
        .value_kind:     global_buffer
      - .address_space:  global
        .offset:         64
        .size:           8
        .value_kind:     global_buffer
      - .actual_access:  read_only
        .address_space:  global
        .offset:         72
        .size:           8
        .value_kind:     global_buffer
      - .address_space:  global
        .offset:         80
        .size:           8
        .value_kind:     global_buffer
      - .offset:         88
        .size:           4
        .value_kind:     by_value
      - .offset:         92
        .size:           4
        .value_kind:     by_value
      - .offset:         96
        .size:           4
        .value_kind:     by_value
      - .offset:         100
        .size:           1
        .value_kind:     by_value
    .group_segment_fixed_size: 8448
    .kernarg_segment_align: 8
    .kernarg_segment_size: 104
    .language:       OpenCL C
    .language_version:
      - 2
      - 0
    .max_flat_workgroup_size: 128
    .name:           _ZN9rocsparseL18bsrsv_upper_sharedILj128ELj64ELi32ELb0EfEEviNS_24const_host_device_scalarIT3_EEPKiS5_PKS2_iS7_PS2_PiS9_S9_21rocsparse_index_base_20rocsparse_diag_type_20rocsparse_direction_b
    .private_segment_fixed_size: 0
    .sgpr_count:     39
    .sgpr_spill_count: 0
    .symbol:         _ZN9rocsparseL18bsrsv_upper_sharedILj128ELj64ELi32ELb0EfEEviNS_24const_host_device_scalarIT3_EEPKiS5_PKS2_iS7_PS2_PiS9_S9_21rocsparse_index_base_20rocsparse_diag_type_20rocsparse_direction_b.kd
    .uniform_work_group_size: 1
    .uses_dynamic_stack: false
    .vgpr_count:     43
    .vgpr_spill_count: 0
    .wavefront_size: 64
  - .args:
      - .offset:         0
        .size:           4
        .value_kind:     by_value
      - .offset:         8
        .size:           8
        .value_kind:     by_value
      - .actual_access:  read_only
        .address_space:  global
        .offset:         16
        .size:           8
        .value_kind:     global_buffer
      - .actual_access:  read_only
        .address_space:  global
        .offset:         24
        .size:           8
        .value_kind:     global_buffer
      - .actual_access:  read_only
        .address_space:  global
        .offset:         32
        .size:           8
        .value_kind:     global_buffer
      - .offset:         40
        .size:           4
        .value_kind:     by_value
      - .actual_access:  read_only
        .address_space:  global
        .offset:         48
        .size:           8
        .value_kind:     global_buffer
      - .address_space:  global
        .offset:         56
        .size:           8
        .value_kind:     global_buffer
      - .address_space:  global
        .offset:         64
        .size:           8
        .value_kind:     global_buffer
      - .actual_access:  read_only
        .address_space:  global
        .offset:         72
        .size:           8
        .value_kind:     global_buffer
      - .address_space:  global
        .offset:         80
        .size:           8
        .value_kind:     global_buffer
      - .offset:         88
        .size:           4
        .value_kind:     by_value
      - .offset:         92
        .size:           4
        .value_kind:     by_value
      - .offset:         96
        .size:           4
        .value_kind:     by_value
      - .offset:         100
        .size:           1
        .value_kind:     by_value
    .group_segment_fixed_size: 0
    .kernarg_segment_align: 8
    .kernarg_segment_size: 104
    .language:       OpenCL C
    .language_version:
      - 2
      - 0
    .max_flat_workgroup_size: 128
    .name:           _ZN9rocsparseL19bsrsv_lower_generalILj128ELj64ELb1EfEEviNS_24const_host_device_scalarIT2_EEPKiS5_PKS2_iS7_PS2_PiS9_S9_21rocsparse_index_base_20rocsparse_diag_type_20rocsparse_direction_b
    .private_segment_fixed_size: 0
    .sgpr_count:     39
    .sgpr_spill_count: 0
    .symbol:         _ZN9rocsparseL19bsrsv_lower_generalILj128ELj64ELb1EfEEviNS_24const_host_device_scalarIT2_EEPKiS5_PKS2_iS7_PS2_PiS9_S9_21rocsparse_index_base_20rocsparse_diag_type_20rocsparse_direction_b.kd
    .uniform_work_group_size: 1
    .uses_dynamic_stack: false
    .vgpr_count:     19
    .vgpr_spill_count: 0
    .wavefront_size: 64
  - .args:
      - .offset:         0
        .size:           4
        .value_kind:     by_value
      - .offset:         8
        .size:           8
        .value_kind:     by_value
      - .actual_access:  read_only
        .address_space:  global
        .offset:         16
        .size:           8
        .value_kind:     global_buffer
      - .actual_access:  read_only
        .address_space:  global
        .offset:         24
        .size:           8
        .value_kind:     global_buffer
      - .actual_access:  read_only
        .address_space:  global
        .offset:         32
        .size:           8
        .value_kind:     global_buffer
      - .offset:         40
        .size:           4
        .value_kind:     by_value
      - .actual_access:  read_only
        .address_space:  global
        .offset:         48
        .size:           8
        .value_kind:     global_buffer
      - .address_space:  global
        .offset:         56
        .size:           8
        .value_kind:     global_buffer
      - .address_space:  global
        .offset:         64
        .size:           8
        .value_kind:     global_buffer
      - .actual_access:  read_only
        .address_space:  global
        .offset:         72
        .size:           8
        .value_kind:     global_buffer
      - .address_space:  global
        .offset:         80
        .size:           8
        .value_kind:     global_buffer
      - .offset:         88
        .size:           4
        .value_kind:     by_value
      - .offset:         92
        .size:           4
        .value_kind:     by_value
      - .offset:         96
        .size:           4
        .value_kind:     by_value
      - .offset:         100
        .size:           1
        .value_kind:     by_value
    .group_segment_fixed_size: 0
    .kernarg_segment_align: 8
    .kernarg_segment_size: 104
    .language:       OpenCL C
    .language_version:
      - 2
      - 0
    .max_flat_workgroup_size: 128
    .name:           _ZN9rocsparseL19bsrsv_lower_generalILj128ELj64ELb0EfEEviNS_24const_host_device_scalarIT2_EEPKiS5_PKS2_iS7_PS2_PiS9_S9_21rocsparse_index_base_20rocsparse_diag_type_20rocsparse_direction_b
    .private_segment_fixed_size: 0
    .sgpr_count:     39
    .sgpr_spill_count: 0
    .symbol:         _ZN9rocsparseL19bsrsv_lower_generalILj128ELj64ELb0EfEEviNS_24const_host_device_scalarIT2_EEPKiS5_PKS2_iS7_PS2_PiS9_S9_21rocsparse_index_base_20rocsparse_diag_type_20rocsparse_direction_b.kd
    .uniform_work_group_size: 1
    .uses_dynamic_stack: false
    .vgpr_count:     19
    .vgpr_spill_count: 0
    .wavefront_size: 64
  - .args:
      - .offset:         0
        .size:           4
        .value_kind:     by_value
      - .offset:         8
        .size:           8
        .value_kind:     by_value
      - .actual_access:  read_only
        .address_space:  global
        .offset:         16
        .size:           8
        .value_kind:     global_buffer
      - .actual_access:  read_only
        .address_space:  global
        .offset:         24
        .size:           8
        .value_kind:     global_buffer
      - .actual_access:  read_only
        .address_space:  global
        .offset:         32
        .size:           8
        .value_kind:     global_buffer
      - .offset:         40
        .size:           4
        .value_kind:     by_value
      - .actual_access:  read_only
        .address_space:  global
        .offset:         48
        .size:           8
        .value_kind:     global_buffer
      - .address_space:  global
        .offset:         56
        .size:           8
        .value_kind:     global_buffer
      - .address_space:  global
        .offset:         64
        .size:           8
        .value_kind:     global_buffer
      - .actual_access:  read_only
        .address_space:  global
        .offset:         72
        .size:           8
        .value_kind:     global_buffer
      - .address_space:  global
        .offset:         80
        .size:           8
        .value_kind:     global_buffer
      - .offset:         88
        .size:           4
        .value_kind:     by_value
      - .offset:         92
        .size:           4
        .value_kind:     by_value
      - .offset:         96
        .size:           4
        .value_kind:     by_value
      - .offset:         100
        .size:           1
        .value_kind:     by_value
    .group_segment_fixed_size: 0
    .kernarg_segment_align: 8
    .kernarg_segment_size: 104
    .language:       OpenCL C
    .language_version:
      - 2
      - 0
    .max_flat_workgroup_size: 128
    .name:           _ZN9rocsparseL19bsrsv_upper_generalILj128ELj64ELb1EfEEviNS_24const_host_device_scalarIT2_EEPKiS5_PKS2_iS7_PS2_PiS9_S9_21rocsparse_index_base_20rocsparse_diag_type_20rocsparse_direction_b
    .private_segment_fixed_size: 0
    .sgpr_count:     39
    .sgpr_spill_count: 0
    .symbol:         _ZN9rocsparseL19bsrsv_upper_generalILj128ELj64ELb1EfEEviNS_24const_host_device_scalarIT2_EEPKiS5_PKS2_iS7_PS2_PiS9_S9_21rocsparse_index_base_20rocsparse_diag_type_20rocsparse_direction_b.kd
    .uniform_work_group_size: 1
    .uses_dynamic_stack: false
    .vgpr_count:     19
    .vgpr_spill_count: 0
    .wavefront_size: 64
  - .args:
      - .offset:         0
        .size:           4
        .value_kind:     by_value
      - .offset:         8
        .size:           8
        .value_kind:     by_value
      - .actual_access:  read_only
        .address_space:  global
        .offset:         16
        .size:           8
        .value_kind:     global_buffer
      - .actual_access:  read_only
        .address_space:  global
        .offset:         24
        .size:           8
        .value_kind:     global_buffer
      - .actual_access:  read_only
        .address_space:  global
        .offset:         32
        .size:           8
        .value_kind:     global_buffer
      - .offset:         40
        .size:           4
        .value_kind:     by_value
      - .actual_access:  read_only
        .address_space:  global
        .offset:         48
        .size:           8
        .value_kind:     global_buffer
      - .address_space:  global
        .offset:         56
        .size:           8
        .value_kind:     global_buffer
      - .address_space:  global
        .offset:         64
        .size:           8
        .value_kind:     global_buffer
      - .actual_access:  read_only
        .address_space:  global
        .offset:         72
        .size:           8
        .value_kind:     global_buffer
      - .address_space:  global
        .offset:         80
        .size:           8
        .value_kind:     global_buffer
      - .offset:         88
        .size:           4
        .value_kind:     by_value
      - .offset:         92
        .size:           4
        .value_kind:     by_value
      - .offset:         96
        .size:           4
        .value_kind:     by_value
      - .offset:         100
        .size:           1
        .value_kind:     by_value
    .group_segment_fixed_size: 0
    .kernarg_segment_align: 8
    .kernarg_segment_size: 104
    .language:       OpenCL C
    .language_version:
      - 2
      - 0
    .max_flat_workgroup_size: 128
    .name:           _ZN9rocsparseL19bsrsv_upper_generalILj128ELj64ELb0EfEEviNS_24const_host_device_scalarIT2_EEPKiS5_PKS2_iS7_PS2_PiS9_S9_21rocsparse_index_base_20rocsparse_diag_type_20rocsparse_direction_b
    .private_segment_fixed_size: 0
    .sgpr_count:     39
    .sgpr_spill_count: 0
    .symbol:         _ZN9rocsparseL19bsrsv_upper_generalILj128ELj64ELb0EfEEviNS_24const_host_device_scalarIT2_EEPKiS5_PKS2_iS7_PS2_PiS9_S9_21rocsparse_index_base_20rocsparse_diag_type_20rocsparse_direction_b.kd
    .uniform_work_group_size: 1
    .uses_dynamic_stack: false
    .vgpr_count:     19
    .vgpr_spill_count: 0
    .wavefront_size: 64
  - .args:
      - .offset:         0
        .size:           4
        .value_kind:     by_value
      - .offset:         8
        .size:           8
        .value_kind:     by_value
      - .actual_access:  read_only
        .address_space:  global
        .offset:         16
        .size:           8
        .value_kind:     global_buffer
      - .actual_access:  read_only
        .address_space:  global
        .offset:         24
        .size:           8
        .value_kind:     global_buffer
      - .actual_access:  read_only
        .address_space:  global
        .offset:         32
        .size:           8
        .value_kind:     global_buffer
      - .offset:         40
        .size:           4
        .value_kind:     by_value
      - .actual_access:  read_only
        .address_space:  global
        .offset:         48
        .size:           8
        .value_kind:     global_buffer
      - .address_space:  global
        .offset:         56
        .size:           8
        .value_kind:     global_buffer
      - .address_space:  global
        .offset:         64
        .size:           8
        .value_kind:     global_buffer
      - .actual_access:  read_only
        .address_space:  global
        .offset:         72
        .size:           8
        .value_kind:     global_buffer
      - .address_space:  global
        .offset:         80
        .size:           8
        .value_kind:     global_buffer
      - .offset:         88
        .size:           4
        .value_kind:     by_value
      - .offset:         92
        .size:           4
        .value_kind:     by_value
      - .offset:         96
        .size:           4
        .value_kind:     by_value
      - .offset:         100
        .size:           1
        .value_kind:     by_value
    .group_segment_fixed_size: 0
    .kernarg_segment_align: 8
    .kernarg_segment_size: 104
    .language:       OpenCL C
    .language_version:
      - 2
      - 0
    .max_flat_workgroup_size: 128
    .name:           _ZN9rocsparseL19bsrsv_lower_generalILj128ELj32ELb1EfEEviNS_24const_host_device_scalarIT2_EEPKiS5_PKS2_iS7_PS2_PiS9_S9_21rocsparse_index_base_20rocsparse_diag_type_20rocsparse_direction_b
    .private_segment_fixed_size: 0
    .sgpr_count:     39
    .sgpr_spill_count: 0
    .symbol:         _ZN9rocsparseL19bsrsv_lower_generalILj128ELj32ELb1EfEEviNS_24const_host_device_scalarIT2_EEPKiS5_PKS2_iS7_PS2_PiS9_S9_21rocsparse_index_base_20rocsparse_diag_type_20rocsparse_direction_b.kd
    .uniform_work_group_size: 1
    .uses_dynamic_stack: false
    .vgpr_count:     19
    .vgpr_spill_count: 0
    .wavefront_size: 64
  - .args:
      - .offset:         0
        .size:           4
        .value_kind:     by_value
      - .offset:         8
        .size:           8
        .value_kind:     by_value
      - .actual_access:  read_only
        .address_space:  global
        .offset:         16
        .size:           8
        .value_kind:     global_buffer
      - .actual_access:  read_only
        .address_space:  global
        .offset:         24
        .size:           8
        .value_kind:     global_buffer
      - .actual_access:  read_only
        .address_space:  global
        .offset:         32
        .size:           8
        .value_kind:     global_buffer
      - .offset:         40
        .size:           4
        .value_kind:     by_value
      - .actual_access:  read_only
        .address_space:  global
        .offset:         48
        .size:           8
        .value_kind:     global_buffer
      - .address_space:  global
        .offset:         56
        .size:           8
        .value_kind:     global_buffer
      - .address_space:  global
        .offset:         64
        .size:           8
        .value_kind:     global_buffer
      - .actual_access:  read_only
        .address_space:  global
        .offset:         72
        .size:           8
        .value_kind:     global_buffer
      - .address_space:  global
        .offset:         80
        .size:           8
        .value_kind:     global_buffer
      - .offset:         88
        .size:           4
        .value_kind:     by_value
      - .offset:         92
        .size:           4
        .value_kind:     by_value
      - .offset:         96
        .size:           4
        .value_kind:     by_value
      - .offset:         100
        .size:           1
        .value_kind:     by_value
    .group_segment_fixed_size: 0
    .kernarg_segment_align: 8
    .kernarg_segment_size: 104
    .language:       OpenCL C
    .language_version:
      - 2
      - 0
    .max_flat_workgroup_size: 128
    .name:           _ZN9rocsparseL19bsrsv_lower_generalILj128ELj32ELb0EfEEviNS_24const_host_device_scalarIT2_EEPKiS5_PKS2_iS7_PS2_PiS9_S9_21rocsparse_index_base_20rocsparse_diag_type_20rocsparse_direction_b
    .private_segment_fixed_size: 0
    .sgpr_count:     39
    .sgpr_spill_count: 0
    .symbol:         _ZN9rocsparseL19bsrsv_lower_generalILj128ELj32ELb0EfEEviNS_24const_host_device_scalarIT2_EEPKiS5_PKS2_iS7_PS2_PiS9_S9_21rocsparse_index_base_20rocsparse_diag_type_20rocsparse_direction_b.kd
    .uniform_work_group_size: 1
    .uses_dynamic_stack: false
    .vgpr_count:     19
    .vgpr_spill_count: 0
    .wavefront_size: 64
  - .args:
      - .offset:         0
        .size:           4
        .value_kind:     by_value
      - .offset:         8
        .size:           8
        .value_kind:     by_value
      - .actual_access:  read_only
        .address_space:  global
        .offset:         16
        .size:           8
        .value_kind:     global_buffer
      - .actual_access:  read_only
        .address_space:  global
        .offset:         24
        .size:           8
        .value_kind:     global_buffer
      - .actual_access:  read_only
        .address_space:  global
        .offset:         32
        .size:           8
        .value_kind:     global_buffer
      - .offset:         40
        .size:           4
        .value_kind:     by_value
      - .actual_access:  read_only
        .address_space:  global
        .offset:         48
        .size:           8
        .value_kind:     global_buffer
      - .address_space:  global
        .offset:         56
        .size:           8
        .value_kind:     global_buffer
      - .address_space:  global
        .offset:         64
        .size:           8
        .value_kind:     global_buffer
      - .actual_access:  read_only
        .address_space:  global
        .offset:         72
        .size:           8
        .value_kind:     global_buffer
      - .address_space:  global
        .offset:         80
        .size:           8
        .value_kind:     global_buffer
      - .offset:         88
        .size:           4
        .value_kind:     by_value
      - .offset:         92
        .size:           4
        .value_kind:     by_value
      - .offset:         96
        .size:           4
        .value_kind:     by_value
      - .offset:         100
        .size:           1
        .value_kind:     by_value
    .group_segment_fixed_size: 0
    .kernarg_segment_align: 8
    .kernarg_segment_size: 104
    .language:       OpenCL C
    .language_version:
      - 2
      - 0
    .max_flat_workgroup_size: 128
    .name:           _ZN9rocsparseL19bsrsv_upper_generalILj128ELj32ELb1EfEEviNS_24const_host_device_scalarIT2_EEPKiS5_PKS2_iS7_PS2_PiS9_S9_21rocsparse_index_base_20rocsparse_diag_type_20rocsparse_direction_b
    .private_segment_fixed_size: 0
    .sgpr_count:     39
    .sgpr_spill_count: 0
    .symbol:         _ZN9rocsparseL19bsrsv_upper_generalILj128ELj32ELb1EfEEviNS_24const_host_device_scalarIT2_EEPKiS5_PKS2_iS7_PS2_PiS9_S9_21rocsparse_index_base_20rocsparse_diag_type_20rocsparse_direction_b.kd
    .uniform_work_group_size: 1
    .uses_dynamic_stack: false
    .vgpr_count:     19
    .vgpr_spill_count: 0
    .wavefront_size: 64
  - .args:
      - .offset:         0
        .size:           4
        .value_kind:     by_value
      - .offset:         8
        .size:           8
        .value_kind:     by_value
      - .actual_access:  read_only
        .address_space:  global
        .offset:         16
        .size:           8
        .value_kind:     global_buffer
      - .actual_access:  read_only
        .address_space:  global
        .offset:         24
        .size:           8
        .value_kind:     global_buffer
      - .actual_access:  read_only
        .address_space:  global
        .offset:         32
        .size:           8
        .value_kind:     global_buffer
      - .offset:         40
        .size:           4
        .value_kind:     by_value
      - .actual_access:  read_only
        .address_space:  global
        .offset:         48
        .size:           8
        .value_kind:     global_buffer
      - .address_space:  global
        .offset:         56
        .size:           8
        .value_kind:     global_buffer
      - .address_space:  global
        .offset:         64
        .size:           8
        .value_kind:     global_buffer
      - .actual_access:  read_only
        .address_space:  global
        .offset:         72
        .size:           8
        .value_kind:     global_buffer
      - .address_space:  global
        .offset:         80
        .size:           8
        .value_kind:     global_buffer
      - .offset:         88
        .size:           4
        .value_kind:     by_value
      - .offset:         92
        .size:           4
        .value_kind:     by_value
      - .offset:         96
        .size:           4
        .value_kind:     by_value
      - .offset:         100
        .size:           1
        .value_kind:     by_value
    .group_segment_fixed_size: 0
    .kernarg_segment_align: 8
    .kernarg_segment_size: 104
    .language:       OpenCL C
    .language_version:
      - 2
      - 0
    .max_flat_workgroup_size: 128
    .name:           _ZN9rocsparseL19bsrsv_upper_generalILj128ELj32ELb0EfEEviNS_24const_host_device_scalarIT2_EEPKiS5_PKS2_iS7_PS2_PiS9_S9_21rocsparse_index_base_20rocsparse_diag_type_20rocsparse_direction_b
    .private_segment_fixed_size: 0
    .sgpr_count:     39
    .sgpr_spill_count: 0
    .symbol:         _ZN9rocsparseL19bsrsv_upper_generalILj128ELj32ELb0EfEEviNS_24const_host_device_scalarIT2_EEPKiS5_PKS2_iS7_PS2_PiS9_S9_21rocsparse_index_base_20rocsparse_diag_type_20rocsparse_direction_b.kd
    .uniform_work_group_size: 1
    .uses_dynamic_stack: false
    .vgpr_count:     19
    .vgpr_spill_count: 0
    .wavefront_size: 64
  - .args:
      - .offset:         0
        .size:           4
        .value_kind:     by_value
      - .offset:         4
        .size:           4
        .value_kind:     by_value
      - .actual_access:  read_only
        .address_space:  global
        .offset:         8
        .size:           8
        .value_kind:     global_buffer
      - .actual_access:  read_only
        .address_space:  global
        .offset:         16
        .size:           8
        .value_kind:     global_buffer
      - .actual_access:  write_only
        .address_space:  global
        .offset:         24
        .size:           8
        .value_kind:     global_buffer
      - .offset:         32
        .size:           4
        .value_kind:     by_value
    .group_segment_fixed_size: 0
    .kernarg_segment_align: 8
    .kernarg_segment_size: 36
    .language:       OpenCL C
    .language_version:
      - 2
      - 0
    .max_flat_workgroup_size: 256
    .name:           _ZN9rocsparseL10bsr_gatherILj4ELj64ELj2EidEEv20rocsparse_direction_T2_PKS2_PKT3_PS5_S2_
    .private_segment_fixed_size: 0
    .sgpr_count:     22
    .sgpr_spill_count: 0
    .symbol:         _ZN9rocsparseL10bsr_gatherILj4ELj64ELj2EidEEv20rocsparse_direction_T2_PKS2_PKT3_PS5_S2_.kd
    .uniform_work_group_size: 1
    .uses_dynamic_stack: false
    .vgpr_count:     12
    .vgpr_spill_count: 0
    .wavefront_size: 64
  - .args:
      - .offset:         0
        .size:           4
        .value_kind:     by_value
      - .offset:         4
        .size:           4
        .value_kind:     by_value
      - .actual_access:  read_only
        .address_space:  global
        .offset:         8
        .size:           8
        .value_kind:     global_buffer
      - .actual_access:  read_only
        .address_space:  global
        .offset:         16
        .size:           8
        .value_kind:     global_buffer
      - .actual_access:  write_only
        .address_space:  global
        .offset:         24
        .size:           8
        .value_kind:     global_buffer
      - .offset:         32
        .size:           4
        .value_kind:     by_value
    .group_segment_fixed_size: 0
    .kernarg_segment_align: 8
    .kernarg_segment_size: 36
    .language:       OpenCL C
    .language_version:
      - 2
      - 0
    .max_flat_workgroup_size: 256
    .name:           _ZN9rocsparseL10bsr_gatherILj16ELj16ELj4EidEEv20rocsparse_direction_T2_PKS2_PKT3_PS5_S2_
    .private_segment_fixed_size: 0
    .sgpr_count:     22
    .sgpr_spill_count: 0
    .symbol:         _ZN9rocsparseL10bsr_gatherILj16ELj16ELj4EidEEv20rocsparse_direction_T2_PKS2_PKT3_PS5_S2_.kd
    .uniform_work_group_size: 1
    .uses_dynamic_stack: false
    .vgpr_count:     12
    .vgpr_spill_count: 0
    .wavefront_size: 64
  - .args:
      - .offset:         0
        .size:           4
        .value_kind:     by_value
      - .offset:         4
        .size:           4
        .value_kind:     by_value
      - .actual_access:  read_only
        .address_space:  global
        .offset:         8
        .size:           8
        .value_kind:     global_buffer
      - .actual_access:  read_only
        .address_space:  global
        .offset:         16
        .size:           8
        .value_kind:     global_buffer
      - .actual_access:  write_only
        .address_space:  global
        .offset:         24
        .size:           8
        .value_kind:     global_buffer
      - .offset:         32
        .size:           4
        .value_kind:     by_value
    .group_segment_fixed_size: 0
    .kernarg_segment_align: 8
    .kernarg_segment_size: 36
    .language:       OpenCL C
    .language_version:
      - 2
      - 0
    .max_flat_workgroup_size: 256
    .name:           _ZN9rocsparseL10bsr_gatherILj64ELj4ELj8EidEEv20rocsparse_direction_T2_PKS2_PKT3_PS5_S2_
    .private_segment_fixed_size: 0
    .sgpr_count:     22
    .sgpr_spill_count: 0
    .symbol:         _ZN9rocsparseL10bsr_gatherILj64ELj4ELj8EidEEv20rocsparse_direction_T2_PKS2_PKT3_PS5_S2_.kd
    .uniform_work_group_size: 1
    .uses_dynamic_stack: false
    .vgpr_count:     12
    .vgpr_spill_count: 0
    .wavefront_size: 64
  - .args:
      - .offset:         0
        .size:           4
        .value_kind:     by_value
      - .offset:         8
        .size:           8
        .value_kind:     by_value
      - .actual_access:  read_only
        .address_space:  global
        .offset:         16
        .size:           8
        .value_kind:     global_buffer
      - .actual_access:  read_only
        .address_space:  global
        .offset:         24
        .size:           8
        .value_kind:     global_buffer
      - .actual_access:  read_only
        .address_space:  global
        .offset:         32
        .size:           8
        .value_kind:     global_buffer
      - .offset:         40
        .size:           4
        .value_kind:     by_value
      - .actual_access:  read_only
        .address_space:  global
        .offset:         48
        .size:           8
        .value_kind:     global_buffer
      - .address_space:  global
        .offset:         56
        .size:           8
        .value_kind:     global_buffer
      - .address_space:  global
        .offset:         64
        .size:           8
        .value_kind:     global_buffer
      - .actual_access:  read_only
        .address_space:  global
        .offset:         72
        .size:           8
        .value_kind:     global_buffer
      - .address_space:  global
        .offset:         80
        .size:           8
        .value_kind:     global_buffer
      - .offset:         88
        .size:           4
        .value_kind:     by_value
      - .offset:         92
        .size:           4
        .value_kind:     by_value
      - .offset:         96
        .size:           4
        .value_kind:     by_value
      - .offset:         100
        .size:           1
        .value_kind:     by_value
    .group_segment_fixed_size: 1152
    .kernarg_segment_align: 8
    .kernarg_segment_size: 104
    .language:       OpenCL C
    .language_version:
      - 2
      - 0
    .max_flat_workgroup_size: 128
    .name:           _ZN9rocsparseL18bsrsv_lower_sharedILj128ELj64ELi8ELb1EdEEviNS_24const_host_device_scalarIT3_EEPKiS5_PKS2_iS7_PS2_PiS9_S9_21rocsparse_index_base_20rocsparse_diag_type_20rocsparse_direction_b
    .private_segment_fixed_size: 0
    .sgpr_count:     38
    .sgpr_spill_count: 0
    .symbol:         _ZN9rocsparseL18bsrsv_lower_sharedILj128ELj64ELi8ELb1EdEEviNS_24const_host_device_scalarIT3_EEPKiS5_PKS2_iS7_PS2_PiS9_S9_21rocsparse_index_base_20rocsparse_diag_type_20rocsparse_direction_b.kd
    .uniform_work_group_size: 1
    .uses_dynamic_stack: false
    .vgpr_count:     32
    .vgpr_spill_count: 0
    .wavefront_size: 64
  - .args:
      - .offset:         0
        .size:           4
        .value_kind:     by_value
      - .offset:         8
        .size:           8
        .value_kind:     by_value
      - .actual_access:  read_only
        .address_space:  global
        .offset:         16
        .size:           8
        .value_kind:     global_buffer
      - .actual_access:  read_only
        .address_space:  global
        .offset:         24
        .size:           8
        .value_kind:     global_buffer
      - .actual_access:  read_only
        .address_space:  global
        .offset:         32
        .size:           8
        .value_kind:     global_buffer
      - .offset:         40
        .size:           4
        .value_kind:     by_value
      - .actual_access:  read_only
        .address_space:  global
        .offset:         48
        .size:           8
        .value_kind:     global_buffer
      - .address_space:  global
        .offset:         56
        .size:           8
        .value_kind:     global_buffer
      - .address_space:  global
        .offset:         64
        .size:           8
        .value_kind:     global_buffer
      - .actual_access:  read_only
        .address_space:  global
        .offset:         72
        .size:           8
        .value_kind:     global_buffer
      - .address_space:  global
        .offset:         80
        .size:           8
        .value_kind:     global_buffer
      - .offset:         88
        .size:           4
        .value_kind:     by_value
      - .offset:         92
        .size:           4
        .value_kind:     by_value
      - .offset:         96
        .size:           4
        .value_kind:     by_value
      - .offset:         100
        .size:           1
        .value_kind:     by_value
    .group_segment_fixed_size: 1152
    .kernarg_segment_align: 8
    .kernarg_segment_size: 104
    .language:       OpenCL C
    .language_version:
      - 2
      - 0
    .max_flat_workgroup_size: 128
    .name:           _ZN9rocsparseL18bsrsv_lower_sharedILj128ELj64ELi8ELb0EdEEviNS_24const_host_device_scalarIT3_EEPKiS5_PKS2_iS7_PS2_PiS9_S9_21rocsparse_index_base_20rocsparse_diag_type_20rocsparse_direction_b
    .private_segment_fixed_size: 0
    .sgpr_count:     38
    .sgpr_spill_count: 0
    .symbol:         _ZN9rocsparseL18bsrsv_lower_sharedILj128ELj64ELi8ELb0EdEEviNS_24const_host_device_scalarIT3_EEPKiS5_PKS2_iS7_PS2_PiS9_S9_21rocsparse_index_base_20rocsparse_diag_type_20rocsparse_direction_b.kd
    .uniform_work_group_size: 1
    .uses_dynamic_stack: false
    .vgpr_count:     32
    .vgpr_spill_count: 0
    .wavefront_size: 64
  - .args:
      - .offset:         0
        .size:           4
        .value_kind:     by_value
      - .offset:         8
        .size:           8
        .value_kind:     by_value
      - .actual_access:  read_only
        .address_space:  global
        .offset:         16
        .size:           8
        .value_kind:     global_buffer
      - .actual_access:  read_only
        .address_space:  global
        .offset:         24
        .size:           8
        .value_kind:     global_buffer
      - .actual_access:  read_only
        .address_space:  global
        .offset:         32
        .size:           8
        .value_kind:     global_buffer
      - .offset:         40
        .size:           4
        .value_kind:     by_value
      - .actual_access:  read_only
        .address_space:  global
        .offset:         48
        .size:           8
        .value_kind:     global_buffer
      - .address_space:  global
        .offset:         56
        .size:           8
        .value_kind:     global_buffer
      - .address_space:  global
        .offset:         64
        .size:           8
        .value_kind:     global_buffer
      - .actual_access:  read_only
        .address_space:  global
        .offset:         72
        .size:           8
        .value_kind:     global_buffer
      - .address_space:  global
        .offset:         80
        .size:           8
        .value_kind:     global_buffer
      - .offset:         88
        .size:           4
        .value_kind:     by_value
      - .offset:         92
        .size:           4
        .value_kind:     by_value
      - .offset:         96
        .size:           4
        .value_kind:     by_value
      - .offset:         100
        .size:           1
        .value_kind:     by_value
    .group_segment_fixed_size: 1152
    .kernarg_segment_align: 8
    .kernarg_segment_size: 104
    .language:       OpenCL C
    .language_version:
      - 2
      - 0
    .max_flat_workgroup_size: 128
    .name:           _ZN9rocsparseL18bsrsv_upper_sharedILj128ELj64ELi8ELb1EdEEviNS_24const_host_device_scalarIT3_EEPKiS5_PKS2_iS7_PS2_PiS9_S9_21rocsparse_index_base_20rocsparse_diag_type_20rocsparse_direction_b
    .private_segment_fixed_size: 0
    .sgpr_count:     38
    .sgpr_spill_count: 0
    .symbol:         _ZN9rocsparseL18bsrsv_upper_sharedILj128ELj64ELi8ELb1EdEEviNS_24const_host_device_scalarIT3_EEPKiS5_PKS2_iS7_PS2_PiS9_S9_21rocsparse_index_base_20rocsparse_diag_type_20rocsparse_direction_b.kd
    .uniform_work_group_size: 1
    .uses_dynamic_stack: false
    .vgpr_count:     33
    .vgpr_spill_count: 0
    .wavefront_size: 64
  - .args:
      - .offset:         0
        .size:           4
        .value_kind:     by_value
      - .offset:         8
        .size:           8
        .value_kind:     by_value
      - .actual_access:  read_only
        .address_space:  global
        .offset:         16
        .size:           8
        .value_kind:     global_buffer
      - .actual_access:  read_only
        .address_space:  global
        .offset:         24
        .size:           8
        .value_kind:     global_buffer
      - .actual_access:  read_only
        .address_space:  global
        .offset:         32
        .size:           8
        .value_kind:     global_buffer
      - .offset:         40
        .size:           4
        .value_kind:     by_value
      - .actual_access:  read_only
        .address_space:  global
        .offset:         48
        .size:           8
        .value_kind:     global_buffer
      - .address_space:  global
        .offset:         56
        .size:           8
        .value_kind:     global_buffer
      - .address_space:  global
        .offset:         64
        .size:           8
        .value_kind:     global_buffer
      - .actual_access:  read_only
        .address_space:  global
        .offset:         72
        .size:           8
        .value_kind:     global_buffer
      - .address_space:  global
        .offset:         80
        .size:           8
        .value_kind:     global_buffer
      - .offset:         88
        .size:           4
        .value_kind:     by_value
      - .offset:         92
        .size:           4
        .value_kind:     by_value
      - .offset:         96
        .size:           4
        .value_kind:     by_value
      - .offset:         100
        .size:           1
        .value_kind:     by_value
    .group_segment_fixed_size: 1152
    .kernarg_segment_align: 8
    .kernarg_segment_size: 104
    .language:       OpenCL C
    .language_version:
      - 2
      - 0
    .max_flat_workgroup_size: 128
    .name:           _ZN9rocsparseL18bsrsv_upper_sharedILj128ELj64ELi8ELb0EdEEviNS_24const_host_device_scalarIT3_EEPKiS5_PKS2_iS7_PS2_PiS9_S9_21rocsparse_index_base_20rocsparse_diag_type_20rocsparse_direction_b
    .private_segment_fixed_size: 0
    .sgpr_count:     38
    .sgpr_spill_count: 0
    .symbol:         _ZN9rocsparseL18bsrsv_upper_sharedILj128ELj64ELi8ELb0EdEEviNS_24const_host_device_scalarIT3_EEPKiS5_PKS2_iS7_PS2_PiS9_S9_21rocsparse_index_base_20rocsparse_diag_type_20rocsparse_direction_b.kd
    .uniform_work_group_size: 1
    .uses_dynamic_stack: false
    .vgpr_count:     33
    .vgpr_spill_count: 0
    .wavefront_size: 64
  - .args:
      - .offset:         0
        .size:           4
        .value_kind:     by_value
      - .offset:         8
        .size:           8
        .value_kind:     by_value
      - .actual_access:  read_only
        .address_space:  global
        .offset:         16
        .size:           8
        .value_kind:     global_buffer
      - .actual_access:  read_only
        .address_space:  global
        .offset:         24
        .size:           8
        .value_kind:     global_buffer
      - .actual_access:  read_only
        .address_space:  global
        .offset:         32
        .size:           8
        .value_kind:     global_buffer
      - .offset:         40
        .size:           4
        .value_kind:     by_value
      - .actual_access:  read_only
        .address_space:  global
        .offset:         48
        .size:           8
        .value_kind:     global_buffer
      - .address_space:  global
        .offset:         56
        .size:           8
        .value_kind:     global_buffer
      - .address_space:  global
        .offset:         64
        .size:           8
        .value_kind:     global_buffer
      - .actual_access:  read_only
        .address_space:  global
        .offset:         72
        .size:           8
        .value_kind:     global_buffer
      - .address_space:  global
        .offset:         80
        .size:           8
        .value_kind:     global_buffer
      - .offset:         88
        .size:           4
        .value_kind:     by_value
      - .offset:         92
        .size:           4
        .value_kind:     by_value
      - .offset:         96
        .size:           4
        .value_kind:     by_value
      - .offset:         100
        .size:           1
        .value_kind:     by_value
    .group_segment_fixed_size: 4352
    .kernarg_segment_align: 8
    .kernarg_segment_size: 104
    .language:       OpenCL C
    .language_version:
      - 2
      - 0
    .max_flat_workgroup_size: 128
    .name:           _ZN9rocsparseL18bsrsv_lower_sharedILj128ELj64ELi16ELb1EdEEviNS_24const_host_device_scalarIT3_EEPKiS5_PKS2_iS7_PS2_PiS9_S9_21rocsparse_index_base_20rocsparse_diag_type_20rocsparse_direction_b
    .private_segment_fixed_size: 0
    .sgpr_count:     39
    .sgpr_spill_count: 0
    .symbol:         _ZN9rocsparseL18bsrsv_lower_sharedILj128ELj64ELi16ELb1EdEEviNS_24const_host_device_scalarIT3_EEPKiS5_PKS2_iS7_PS2_PiS9_S9_21rocsparse_index_base_20rocsparse_diag_type_20rocsparse_direction_b.kd
    .uniform_work_group_size: 1
    .uses_dynamic_stack: false
    .vgpr_count:     32
    .vgpr_spill_count: 0
    .wavefront_size: 64
  - .args:
      - .offset:         0
        .size:           4
        .value_kind:     by_value
      - .offset:         8
        .size:           8
        .value_kind:     by_value
      - .actual_access:  read_only
        .address_space:  global
        .offset:         16
        .size:           8
        .value_kind:     global_buffer
      - .actual_access:  read_only
        .address_space:  global
        .offset:         24
        .size:           8
        .value_kind:     global_buffer
      - .actual_access:  read_only
        .address_space:  global
        .offset:         32
        .size:           8
        .value_kind:     global_buffer
      - .offset:         40
        .size:           4
        .value_kind:     by_value
      - .actual_access:  read_only
        .address_space:  global
        .offset:         48
        .size:           8
        .value_kind:     global_buffer
      - .address_space:  global
        .offset:         56
        .size:           8
        .value_kind:     global_buffer
      - .address_space:  global
        .offset:         64
        .size:           8
        .value_kind:     global_buffer
      - .actual_access:  read_only
        .address_space:  global
        .offset:         72
        .size:           8
        .value_kind:     global_buffer
      - .address_space:  global
        .offset:         80
        .size:           8
        .value_kind:     global_buffer
      - .offset:         88
        .size:           4
        .value_kind:     by_value
      - .offset:         92
        .size:           4
        .value_kind:     by_value
      - .offset:         96
        .size:           4
        .value_kind:     by_value
      - .offset:         100
        .size:           1
        .value_kind:     by_value
    .group_segment_fixed_size: 4352
    .kernarg_segment_align: 8
    .kernarg_segment_size: 104
    .language:       OpenCL C
    .language_version:
      - 2
      - 0
    .max_flat_workgroup_size: 128
    .name:           _ZN9rocsparseL18bsrsv_lower_sharedILj128ELj64ELi16ELb0EdEEviNS_24const_host_device_scalarIT3_EEPKiS5_PKS2_iS7_PS2_PiS9_S9_21rocsparse_index_base_20rocsparse_diag_type_20rocsparse_direction_b
    .private_segment_fixed_size: 0
    .sgpr_count:     39
    .sgpr_spill_count: 0
    .symbol:         _ZN9rocsparseL18bsrsv_lower_sharedILj128ELj64ELi16ELb0EdEEviNS_24const_host_device_scalarIT3_EEPKiS5_PKS2_iS7_PS2_PiS9_S9_21rocsparse_index_base_20rocsparse_diag_type_20rocsparse_direction_b.kd
    .uniform_work_group_size: 1
    .uses_dynamic_stack: false
    .vgpr_count:     32
    .vgpr_spill_count: 0
    .wavefront_size: 64
  - .args:
      - .offset:         0
        .size:           4
        .value_kind:     by_value
      - .offset:         8
        .size:           8
        .value_kind:     by_value
      - .actual_access:  read_only
        .address_space:  global
        .offset:         16
        .size:           8
        .value_kind:     global_buffer
      - .actual_access:  read_only
        .address_space:  global
        .offset:         24
        .size:           8
        .value_kind:     global_buffer
      - .actual_access:  read_only
        .address_space:  global
        .offset:         32
        .size:           8
        .value_kind:     global_buffer
      - .offset:         40
        .size:           4
        .value_kind:     by_value
      - .actual_access:  read_only
        .address_space:  global
        .offset:         48
        .size:           8
        .value_kind:     global_buffer
      - .address_space:  global
        .offset:         56
        .size:           8
        .value_kind:     global_buffer
      - .address_space:  global
        .offset:         64
        .size:           8
        .value_kind:     global_buffer
      - .actual_access:  read_only
        .address_space:  global
        .offset:         72
        .size:           8
        .value_kind:     global_buffer
      - .address_space:  global
        .offset:         80
        .size:           8
        .value_kind:     global_buffer
      - .offset:         88
        .size:           4
        .value_kind:     by_value
      - .offset:         92
        .size:           4
        .value_kind:     by_value
      - .offset:         96
        .size:           4
        .value_kind:     by_value
      - .offset:         100
        .size:           1
        .value_kind:     by_value
    .group_segment_fixed_size: 4352
    .kernarg_segment_align: 8
    .kernarg_segment_size: 104
    .language:       OpenCL C
    .language_version:
      - 2
      - 0
    .max_flat_workgroup_size: 128
    .name:           _ZN9rocsparseL18bsrsv_upper_sharedILj128ELj64ELi16ELb1EdEEviNS_24const_host_device_scalarIT3_EEPKiS5_PKS2_iS7_PS2_PiS9_S9_21rocsparse_index_base_20rocsparse_diag_type_20rocsparse_direction_b
    .private_segment_fixed_size: 0
    .sgpr_count:     39
    .sgpr_spill_count: 0
    .symbol:         _ZN9rocsparseL18bsrsv_upper_sharedILj128ELj64ELi16ELb1EdEEviNS_24const_host_device_scalarIT3_EEPKiS5_PKS2_iS7_PS2_PiS9_S9_21rocsparse_index_base_20rocsparse_diag_type_20rocsparse_direction_b.kd
    .uniform_work_group_size: 1
    .uses_dynamic_stack: false
    .vgpr_count:     32
    .vgpr_spill_count: 0
    .wavefront_size: 64
  - .args:
      - .offset:         0
        .size:           4
        .value_kind:     by_value
      - .offset:         8
        .size:           8
        .value_kind:     by_value
      - .actual_access:  read_only
        .address_space:  global
        .offset:         16
        .size:           8
        .value_kind:     global_buffer
      - .actual_access:  read_only
        .address_space:  global
        .offset:         24
        .size:           8
        .value_kind:     global_buffer
      - .actual_access:  read_only
        .address_space:  global
        .offset:         32
        .size:           8
        .value_kind:     global_buffer
      - .offset:         40
        .size:           4
        .value_kind:     by_value
      - .actual_access:  read_only
        .address_space:  global
        .offset:         48
        .size:           8
        .value_kind:     global_buffer
      - .address_space:  global
        .offset:         56
        .size:           8
        .value_kind:     global_buffer
      - .address_space:  global
        .offset:         64
        .size:           8
        .value_kind:     global_buffer
      - .actual_access:  read_only
        .address_space:  global
        .offset:         72
        .size:           8
        .value_kind:     global_buffer
      - .address_space:  global
        .offset:         80
        .size:           8
        .value_kind:     global_buffer
      - .offset:         88
        .size:           4
        .value_kind:     by_value
      - .offset:         92
        .size:           4
        .value_kind:     by_value
      - .offset:         96
        .size:           4
        .value_kind:     by_value
      - .offset:         100
        .size:           1
        .value_kind:     by_value
    .group_segment_fixed_size: 4352
    .kernarg_segment_align: 8
    .kernarg_segment_size: 104
    .language:       OpenCL C
    .language_version:
      - 2
      - 0
    .max_flat_workgroup_size: 128
    .name:           _ZN9rocsparseL18bsrsv_upper_sharedILj128ELj64ELi16ELb0EdEEviNS_24const_host_device_scalarIT3_EEPKiS5_PKS2_iS7_PS2_PiS9_S9_21rocsparse_index_base_20rocsparse_diag_type_20rocsparse_direction_b
    .private_segment_fixed_size: 0
    .sgpr_count:     39
    .sgpr_spill_count: 0
    .symbol:         _ZN9rocsparseL18bsrsv_upper_sharedILj128ELj64ELi16ELb0EdEEviNS_24const_host_device_scalarIT3_EEPKiS5_PKS2_iS7_PS2_PiS9_S9_21rocsparse_index_base_20rocsparse_diag_type_20rocsparse_direction_b.kd
    .uniform_work_group_size: 1
    .uses_dynamic_stack: false
    .vgpr_count:     32
    .vgpr_spill_count: 0
    .wavefront_size: 64
  - .args:
      - .offset:         0
        .size:           4
        .value_kind:     by_value
      - .offset:         8
        .size:           8
        .value_kind:     by_value
      - .actual_access:  read_only
        .address_space:  global
        .offset:         16
        .size:           8
        .value_kind:     global_buffer
      - .actual_access:  read_only
        .address_space:  global
        .offset:         24
        .size:           8
        .value_kind:     global_buffer
      - .actual_access:  read_only
        .address_space:  global
        .offset:         32
        .size:           8
        .value_kind:     global_buffer
      - .offset:         40
        .size:           4
        .value_kind:     by_value
      - .actual_access:  read_only
        .address_space:  global
        .offset:         48
        .size:           8
        .value_kind:     global_buffer
      - .address_space:  global
        .offset:         56
        .size:           8
        .value_kind:     global_buffer
      - .address_space:  global
        .offset:         64
        .size:           8
        .value_kind:     global_buffer
      - .actual_access:  read_only
        .address_space:  global
        .offset:         72
        .size:           8
        .value_kind:     global_buffer
      - .address_space:  global
        .offset:         80
        .size:           8
        .value_kind:     global_buffer
      - .offset:         88
        .size:           4
        .value_kind:     by_value
      - .offset:         92
        .size:           4
        .value_kind:     by_value
      - .offset:         96
        .size:           4
        .value_kind:     by_value
      - .offset:         100
        .size:           1
        .value_kind:     by_value
    .group_segment_fixed_size: 16896
    .kernarg_segment_align: 8
    .kernarg_segment_size: 104
    .language:       OpenCL C
    .language_version:
      - 2
      - 0
    .max_flat_workgroup_size: 128
    .name:           _ZN9rocsparseL18bsrsv_lower_sharedILj128ELj64ELi32ELb1EdEEviNS_24const_host_device_scalarIT3_EEPKiS5_PKS2_iS7_PS2_PiS9_S9_21rocsparse_index_base_20rocsparse_diag_type_20rocsparse_direction_b
    .private_segment_fixed_size: 0
    .sgpr_count:     39
    .sgpr_spill_count: 0
    .symbol:         _ZN9rocsparseL18bsrsv_lower_sharedILj128ELj64ELi32ELb1EdEEviNS_24const_host_device_scalarIT3_EEPKiS5_PKS2_iS7_PS2_PiS9_S9_21rocsparse_index_base_20rocsparse_diag_type_20rocsparse_direction_b.kd
    .uniform_work_group_size: 1
    .uses_dynamic_stack: false
    .vgpr_count:     35
    .vgpr_spill_count: 0
    .wavefront_size: 64
  - .args:
      - .offset:         0
        .size:           4
        .value_kind:     by_value
      - .offset:         8
        .size:           8
        .value_kind:     by_value
      - .actual_access:  read_only
        .address_space:  global
        .offset:         16
        .size:           8
        .value_kind:     global_buffer
      - .actual_access:  read_only
        .address_space:  global
        .offset:         24
        .size:           8
        .value_kind:     global_buffer
      - .actual_access:  read_only
        .address_space:  global
        .offset:         32
        .size:           8
        .value_kind:     global_buffer
      - .offset:         40
        .size:           4
        .value_kind:     by_value
      - .actual_access:  read_only
        .address_space:  global
        .offset:         48
        .size:           8
        .value_kind:     global_buffer
      - .address_space:  global
        .offset:         56
        .size:           8
        .value_kind:     global_buffer
      - .address_space:  global
        .offset:         64
        .size:           8
        .value_kind:     global_buffer
      - .actual_access:  read_only
        .address_space:  global
        .offset:         72
        .size:           8
        .value_kind:     global_buffer
      - .address_space:  global
        .offset:         80
        .size:           8
        .value_kind:     global_buffer
      - .offset:         88
        .size:           4
        .value_kind:     by_value
      - .offset:         92
        .size:           4
        .value_kind:     by_value
      - .offset:         96
        .size:           4
        .value_kind:     by_value
      - .offset:         100
        .size:           1
        .value_kind:     by_value
    .group_segment_fixed_size: 16896
    .kernarg_segment_align: 8
    .kernarg_segment_size: 104
    .language:       OpenCL C
    .language_version:
      - 2
      - 0
    .max_flat_workgroup_size: 128
    .name:           _ZN9rocsparseL18bsrsv_lower_sharedILj128ELj64ELi32ELb0EdEEviNS_24const_host_device_scalarIT3_EEPKiS5_PKS2_iS7_PS2_PiS9_S9_21rocsparse_index_base_20rocsparse_diag_type_20rocsparse_direction_b
    .private_segment_fixed_size: 0
    .sgpr_count:     39
    .sgpr_spill_count: 0
    .symbol:         _ZN9rocsparseL18bsrsv_lower_sharedILj128ELj64ELi32ELb0EdEEviNS_24const_host_device_scalarIT3_EEPKiS5_PKS2_iS7_PS2_PiS9_S9_21rocsparse_index_base_20rocsparse_diag_type_20rocsparse_direction_b.kd
    .uniform_work_group_size: 1
    .uses_dynamic_stack: false
    .vgpr_count:     35
    .vgpr_spill_count: 0
    .wavefront_size: 64
  - .args:
      - .offset:         0
        .size:           4
        .value_kind:     by_value
      - .offset:         8
        .size:           8
        .value_kind:     by_value
      - .actual_access:  read_only
        .address_space:  global
        .offset:         16
        .size:           8
        .value_kind:     global_buffer
      - .actual_access:  read_only
        .address_space:  global
        .offset:         24
        .size:           8
        .value_kind:     global_buffer
      - .actual_access:  read_only
        .address_space:  global
        .offset:         32
        .size:           8
        .value_kind:     global_buffer
      - .offset:         40
        .size:           4
        .value_kind:     by_value
      - .actual_access:  read_only
        .address_space:  global
        .offset:         48
        .size:           8
        .value_kind:     global_buffer
      - .address_space:  global
        .offset:         56
        .size:           8
        .value_kind:     global_buffer
      - .address_space:  global
        .offset:         64
        .size:           8
        .value_kind:     global_buffer
      - .actual_access:  read_only
        .address_space:  global
        .offset:         72
        .size:           8
        .value_kind:     global_buffer
      - .address_space:  global
        .offset:         80
        .size:           8
        .value_kind:     global_buffer
      - .offset:         88
        .size:           4
        .value_kind:     by_value
      - .offset:         92
        .size:           4
        .value_kind:     by_value
      - .offset:         96
        .size:           4
        .value_kind:     by_value
      - .offset:         100
        .size:           1
        .value_kind:     by_value
    .group_segment_fixed_size: 16896
    .kernarg_segment_align: 8
    .kernarg_segment_size: 104
    .language:       OpenCL C
    .language_version:
      - 2
      - 0
    .max_flat_workgroup_size: 128
    .name:           _ZN9rocsparseL18bsrsv_upper_sharedILj128ELj64ELi32ELb1EdEEviNS_24const_host_device_scalarIT3_EEPKiS5_PKS2_iS7_PS2_PiS9_S9_21rocsparse_index_base_20rocsparse_diag_type_20rocsparse_direction_b
    .private_segment_fixed_size: 0
    .sgpr_count:     39
    .sgpr_spill_count: 0
    .symbol:         _ZN9rocsparseL18bsrsv_upper_sharedILj128ELj64ELi32ELb1EdEEviNS_24const_host_device_scalarIT3_EEPKiS5_PKS2_iS7_PS2_PiS9_S9_21rocsparse_index_base_20rocsparse_diag_type_20rocsparse_direction_b.kd
    .uniform_work_group_size: 1
    .uses_dynamic_stack: false
    .vgpr_count:     36
    .vgpr_spill_count: 0
    .wavefront_size: 64
  - .args:
      - .offset:         0
        .size:           4
        .value_kind:     by_value
      - .offset:         8
        .size:           8
        .value_kind:     by_value
      - .actual_access:  read_only
        .address_space:  global
        .offset:         16
        .size:           8
        .value_kind:     global_buffer
      - .actual_access:  read_only
        .address_space:  global
        .offset:         24
        .size:           8
        .value_kind:     global_buffer
      - .actual_access:  read_only
        .address_space:  global
        .offset:         32
        .size:           8
        .value_kind:     global_buffer
      - .offset:         40
        .size:           4
        .value_kind:     by_value
      - .actual_access:  read_only
        .address_space:  global
        .offset:         48
        .size:           8
        .value_kind:     global_buffer
      - .address_space:  global
        .offset:         56
        .size:           8
        .value_kind:     global_buffer
      - .address_space:  global
        .offset:         64
        .size:           8
        .value_kind:     global_buffer
      - .actual_access:  read_only
        .address_space:  global
        .offset:         72
        .size:           8
        .value_kind:     global_buffer
      - .address_space:  global
        .offset:         80
        .size:           8
        .value_kind:     global_buffer
      - .offset:         88
        .size:           4
        .value_kind:     by_value
      - .offset:         92
        .size:           4
        .value_kind:     by_value
      - .offset:         96
        .size:           4
        .value_kind:     by_value
      - .offset:         100
        .size:           1
        .value_kind:     by_value
    .group_segment_fixed_size: 16896
    .kernarg_segment_align: 8
    .kernarg_segment_size: 104
    .language:       OpenCL C
    .language_version:
      - 2
      - 0
    .max_flat_workgroup_size: 128
    .name:           _ZN9rocsparseL18bsrsv_upper_sharedILj128ELj64ELi32ELb0EdEEviNS_24const_host_device_scalarIT3_EEPKiS5_PKS2_iS7_PS2_PiS9_S9_21rocsparse_index_base_20rocsparse_diag_type_20rocsparse_direction_b
    .private_segment_fixed_size: 0
    .sgpr_count:     39
    .sgpr_spill_count: 0
    .symbol:         _ZN9rocsparseL18bsrsv_upper_sharedILj128ELj64ELi32ELb0EdEEviNS_24const_host_device_scalarIT3_EEPKiS5_PKS2_iS7_PS2_PiS9_S9_21rocsparse_index_base_20rocsparse_diag_type_20rocsparse_direction_b.kd
    .uniform_work_group_size: 1
    .uses_dynamic_stack: false
    .vgpr_count:     36
    .vgpr_spill_count: 0
    .wavefront_size: 64
  - .args:
      - .offset:         0
        .size:           4
        .value_kind:     by_value
      - .offset:         8
        .size:           8
        .value_kind:     by_value
      - .actual_access:  read_only
        .address_space:  global
        .offset:         16
        .size:           8
        .value_kind:     global_buffer
      - .actual_access:  read_only
        .address_space:  global
        .offset:         24
        .size:           8
        .value_kind:     global_buffer
      - .actual_access:  read_only
        .address_space:  global
        .offset:         32
        .size:           8
        .value_kind:     global_buffer
      - .offset:         40
        .size:           4
        .value_kind:     by_value
      - .actual_access:  read_only
        .address_space:  global
        .offset:         48
        .size:           8
        .value_kind:     global_buffer
      - .address_space:  global
        .offset:         56
        .size:           8
        .value_kind:     global_buffer
      - .address_space:  global
        .offset:         64
        .size:           8
        .value_kind:     global_buffer
      - .actual_access:  read_only
        .address_space:  global
        .offset:         72
        .size:           8
        .value_kind:     global_buffer
      - .address_space:  global
        .offset:         80
        .size:           8
        .value_kind:     global_buffer
      - .offset:         88
        .size:           4
        .value_kind:     by_value
      - .offset:         92
        .size:           4
        .value_kind:     by_value
      - .offset:         96
        .size:           4
        .value_kind:     by_value
      - .offset:         100
        .size:           1
        .value_kind:     by_value
    .group_segment_fixed_size: 0
    .kernarg_segment_align: 8
    .kernarg_segment_size: 104
    .language:       OpenCL C
    .language_version:
      - 2
      - 0
    .max_flat_workgroup_size: 128
    .name:           _ZN9rocsparseL19bsrsv_lower_generalILj128ELj64ELb1EdEEviNS_24const_host_device_scalarIT2_EEPKiS5_PKS2_iS7_PS2_PiS9_S9_21rocsparse_index_base_20rocsparse_diag_type_20rocsparse_direction_b
    .private_segment_fixed_size: 0
    .sgpr_count:     39
    .sgpr_spill_count: 0
    .symbol:         _ZN9rocsparseL19bsrsv_lower_generalILj128ELj64ELb1EdEEviNS_24const_host_device_scalarIT2_EEPKiS5_PKS2_iS7_PS2_PiS9_S9_21rocsparse_index_base_20rocsparse_diag_type_20rocsparse_direction_b.kd
    .uniform_work_group_size: 1
    .uses_dynamic_stack: false
    .vgpr_count:     22
    .vgpr_spill_count: 0
    .wavefront_size: 64
  - .args:
      - .offset:         0
        .size:           4
        .value_kind:     by_value
      - .offset:         8
        .size:           8
        .value_kind:     by_value
      - .actual_access:  read_only
        .address_space:  global
        .offset:         16
        .size:           8
        .value_kind:     global_buffer
      - .actual_access:  read_only
        .address_space:  global
        .offset:         24
        .size:           8
        .value_kind:     global_buffer
      - .actual_access:  read_only
        .address_space:  global
        .offset:         32
        .size:           8
        .value_kind:     global_buffer
      - .offset:         40
        .size:           4
        .value_kind:     by_value
      - .actual_access:  read_only
        .address_space:  global
        .offset:         48
        .size:           8
        .value_kind:     global_buffer
      - .address_space:  global
        .offset:         56
        .size:           8
        .value_kind:     global_buffer
      - .address_space:  global
        .offset:         64
        .size:           8
        .value_kind:     global_buffer
      - .actual_access:  read_only
        .address_space:  global
        .offset:         72
        .size:           8
        .value_kind:     global_buffer
      - .address_space:  global
        .offset:         80
        .size:           8
        .value_kind:     global_buffer
      - .offset:         88
        .size:           4
        .value_kind:     by_value
      - .offset:         92
        .size:           4
        .value_kind:     by_value
      - .offset:         96
        .size:           4
        .value_kind:     by_value
      - .offset:         100
        .size:           1
        .value_kind:     by_value
    .group_segment_fixed_size: 0
    .kernarg_segment_align: 8
    .kernarg_segment_size: 104
    .language:       OpenCL C
    .language_version:
      - 2
      - 0
    .max_flat_workgroup_size: 128
    .name:           _ZN9rocsparseL19bsrsv_lower_generalILj128ELj64ELb0EdEEviNS_24const_host_device_scalarIT2_EEPKiS5_PKS2_iS7_PS2_PiS9_S9_21rocsparse_index_base_20rocsparse_diag_type_20rocsparse_direction_b
    .private_segment_fixed_size: 0
    .sgpr_count:     39
    .sgpr_spill_count: 0
    .symbol:         _ZN9rocsparseL19bsrsv_lower_generalILj128ELj64ELb0EdEEviNS_24const_host_device_scalarIT2_EEPKiS5_PKS2_iS7_PS2_PiS9_S9_21rocsparse_index_base_20rocsparse_diag_type_20rocsparse_direction_b.kd
    .uniform_work_group_size: 1
    .uses_dynamic_stack: false
    .vgpr_count:     22
    .vgpr_spill_count: 0
    .wavefront_size: 64
  - .args:
      - .offset:         0
        .size:           4
        .value_kind:     by_value
      - .offset:         8
        .size:           8
        .value_kind:     by_value
      - .actual_access:  read_only
        .address_space:  global
        .offset:         16
        .size:           8
        .value_kind:     global_buffer
      - .actual_access:  read_only
        .address_space:  global
        .offset:         24
        .size:           8
        .value_kind:     global_buffer
      - .actual_access:  read_only
        .address_space:  global
        .offset:         32
        .size:           8
        .value_kind:     global_buffer
      - .offset:         40
        .size:           4
        .value_kind:     by_value
      - .actual_access:  read_only
        .address_space:  global
        .offset:         48
        .size:           8
        .value_kind:     global_buffer
      - .address_space:  global
        .offset:         56
        .size:           8
        .value_kind:     global_buffer
      - .address_space:  global
        .offset:         64
        .size:           8
        .value_kind:     global_buffer
      - .actual_access:  read_only
        .address_space:  global
        .offset:         72
        .size:           8
        .value_kind:     global_buffer
      - .address_space:  global
        .offset:         80
        .size:           8
        .value_kind:     global_buffer
      - .offset:         88
        .size:           4
        .value_kind:     by_value
      - .offset:         92
        .size:           4
        .value_kind:     by_value
      - .offset:         96
        .size:           4
        .value_kind:     by_value
      - .offset:         100
        .size:           1
        .value_kind:     by_value
    .group_segment_fixed_size: 0
    .kernarg_segment_align: 8
    .kernarg_segment_size: 104
    .language:       OpenCL C
    .language_version:
      - 2
      - 0
    .max_flat_workgroup_size: 128
    .name:           _ZN9rocsparseL19bsrsv_upper_generalILj128ELj64ELb1EdEEviNS_24const_host_device_scalarIT2_EEPKiS5_PKS2_iS7_PS2_PiS9_S9_21rocsparse_index_base_20rocsparse_diag_type_20rocsparse_direction_b
    .private_segment_fixed_size: 0
    .sgpr_count:     39
    .sgpr_spill_count: 0
    .symbol:         _ZN9rocsparseL19bsrsv_upper_generalILj128ELj64ELb1EdEEviNS_24const_host_device_scalarIT2_EEPKiS5_PKS2_iS7_PS2_PiS9_S9_21rocsparse_index_base_20rocsparse_diag_type_20rocsparse_direction_b.kd
    .uniform_work_group_size: 1
    .uses_dynamic_stack: false
    .vgpr_count:     22
    .vgpr_spill_count: 0
    .wavefront_size: 64
  - .args:
      - .offset:         0
        .size:           4
        .value_kind:     by_value
      - .offset:         8
        .size:           8
        .value_kind:     by_value
      - .actual_access:  read_only
        .address_space:  global
        .offset:         16
        .size:           8
        .value_kind:     global_buffer
      - .actual_access:  read_only
        .address_space:  global
        .offset:         24
        .size:           8
        .value_kind:     global_buffer
      - .actual_access:  read_only
        .address_space:  global
        .offset:         32
        .size:           8
        .value_kind:     global_buffer
      - .offset:         40
        .size:           4
        .value_kind:     by_value
      - .actual_access:  read_only
        .address_space:  global
        .offset:         48
        .size:           8
        .value_kind:     global_buffer
      - .address_space:  global
        .offset:         56
        .size:           8
        .value_kind:     global_buffer
      - .address_space:  global
        .offset:         64
        .size:           8
        .value_kind:     global_buffer
      - .actual_access:  read_only
        .address_space:  global
        .offset:         72
        .size:           8
        .value_kind:     global_buffer
      - .address_space:  global
        .offset:         80
        .size:           8
        .value_kind:     global_buffer
      - .offset:         88
        .size:           4
        .value_kind:     by_value
      - .offset:         92
        .size:           4
        .value_kind:     by_value
      - .offset:         96
        .size:           4
        .value_kind:     by_value
      - .offset:         100
        .size:           1
        .value_kind:     by_value
    .group_segment_fixed_size: 0
    .kernarg_segment_align: 8
    .kernarg_segment_size: 104
    .language:       OpenCL C
    .language_version:
      - 2
      - 0
    .max_flat_workgroup_size: 128
    .name:           _ZN9rocsparseL19bsrsv_upper_generalILj128ELj64ELb0EdEEviNS_24const_host_device_scalarIT2_EEPKiS5_PKS2_iS7_PS2_PiS9_S9_21rocsparse_index_base_20rocsparse_diag_type_20rocsparse_direction_b
    .private_segment_fixed_size: 0
    .sgpr_count:     39
    .sgpr_spill_count: 0
    .symbol:         _ZN9rocsparseL19bsrsv_upper_generalILj128ELj64ELb0EdEEviNS_24const_host_device_scalarIT2_EEPKiS5_PKS2_iS7_PS2_PiS9_S9_21rocsparse_index_base_20rocsparse_diag_type_20rocsparse_direction_b.kd
    .uniform_work_group_size: 1
    .uses_dynamic_stack: false
    .vgpr_count:     22
    .vgpr_spill_count: 0
    .wavefront_size: 64
  - .args:
      - .offset:         0
        .size:           4
        .value_kind:     by_value
      - .offset:         8
        .size:           8
        .value_kind:     by_value
      - .actual_access:  read_only
        .address_space:  global
        .offset:         16
        .size:           8
        .value_kind:     global_buffer
      - .actual_access:  read_only
        .address_space:  global
        .offset:         24
        .size:           8
        .value_kind:     global_buffer
      - .actual_access:  read_only
        .address_space:  global
        .offset:         32
        .size:           8
        .value_kind:     global_buffer
      - .offset:         40
        .size:           4
        .value_kind:     by_value
      - .actual_access:  read_only
        .address_space:  global
        .offset:         48
        .size:           8
        .value_kind:     global_buffer
      - .address_space:  global
        .offset:         56
        .size:           8
        .value_kind:     global_buffer
      - .address_space:  global
        .offset:         64
        .size:           8
        .value_kind:     global_buffer
      - .actual_access:  read_only
        .address_space:  global
        .offset:         72
        .size:           8
        .value_kind:     global_buffer
      - .address_space:  global
        .offset:         80
        .size:           8
        .value_kind:     global_buffer
      - .offset:         88
        .size:           4
        .value_kind:     by_value
      - .offset:         92
        .size:           4
        .value_kind:     by_value
      - .offset:         96
        .size:           4
        .value_kind:     by_value
      - .offset:         100
        .size:           1
        .value_kind:     by_value
    .group_segment_fixed_size: 0
    .kernarg_segment_align: 8
    .kernarg_segment_size: 104
    .language:       OpenCL C
    .language_version:
      - 2
      - 0
    .max_flat_workgroup_size: 128
    .name:           _ZN9rocsparseL19bsrsv_lower_generalILj128ELj32ELb1EdEEviNS_24const_host_device_scalarIT2_EEPKiS5_PKS2_iS7_PS2_PiS9_S9_21rocsparse_index_base_20rocsparse_diag_type_20rocsparse_direction_b
    .private_segment_fixed_size: 0
    .sgpr_count:     39
    .sgpr_spill_count: 0
    .symbol:         _ZN9rocsparseL19bsrsv_lower_generalILj128ELj32ELb1EdEEviNS_24const_host_device_scalarIT2_EEPKiS5_PKS2_iS7_PS2_PiS9_S9_21rocsparse_index_base_20rocsparse_diag_type_20rocsparse_direction_b.kd
    .uniform_work_group_size: 1
    .uses_dynamic_stack: false
    .vgpr_count:     22
    .vgpr_spill_count: 0
    .wavefront_size: 64
  - .args:
      - .offset:         0
        .size:           4
        .value_kind:     by_value
      - .offset:         8
        .size:           8
        .value_kind:     by_value
      - .actual_access:  read_only
        .address_space:  global
        .offset:         16
        .size:           8
        .value_kind:     global_buffer
      - .actual_access:  read_only
        .address_space:  global
        .offset:         24
        .size:           8
        .value_kind:     global_buffer
      - .actual_access:  read_only
        .address_space:  global
        .offset:         32
        .size:           8
        .value_kind:     global_buffer
      - .offset:         40
        .size:           4
        .value_kind:     by_value
      - .actual_access:  read_only
        .address_space:  global
        .offset:         48
        .size:           8
        .value_kind:     global_buffer
      - .address_space:  global
        .offset:         56
        .size:           8
        .value_kind:     global_buffer
      - .address_space:  global
        .offset:         64
        .size:           8
        .value_kind:     global_buffer
      - .actual_access:  read_only
        .address_space:  global
        .offset:         72
        .size:           8
        .value_kind:     global_buffer
      - .address_space:  global
        .offset:         80
        .size:           8
        .value_kind:     global_buffer
      - .offset:         88
        .size:           4
        .value_kind:     by_value
      - .offset:         92
        .size:           4
        .value_kind:     by_value
      - .offset:         96
        .size:           4
        .value_kind:     by_value
      - .offset:         100
        .size:           1
        .value_kind:     by_value
    .group_segment_fixed_size: 0
    .kernarg_segment_align: 8
    .kernarg_segment_size: 104
    .language:       OpenCL C
    .language_version:
      - 2
      - 0
    .max_flat_workgroup_size: 128
    .name:           _ZN9rocsparseL19bsrsv_lower_generalILj128ELj32ELb0EdEEviNS_24const_host_device_scalarIT2_EEPKiS5_PKS2_iS7_PS2_PiS9_S9_21rocsparse_index_base_20rocsparse_diag_type_20rocsparse_direction_b
    .private_segment_fixed_size: 0
    .sgpr_count:     39
    .sgpr_spill_count: 0
    .symbol:         _ZN9rocsparseL19bsrsv_lower_generalILj128ELj32ELb0EdEEviNS_24const_host_device_scalarIT2_EEPKiS5_PKS2_iS7_PS2_PiS9_S9_21rocsparse_index_base_20rocsparse_diag_type_20rocsparse_direction_b.kd
    .uniform_work_group_size: 1
    .uses_dynamic_stack: false
    .vgpr_count:     22
    .vgpr_spill_count: 0
    .wavefront_size: 64
  - .args:
      - .offset:         0
        .size:           4
        .value_kind:     by_value
      - .offset:         8
        .size:           8
        .value_kind:     by_value
      - .actual_access:  read_only
        .address_space:  global
        .offset:         16
        .size:           8
        .value_kind:     global_buffer
      - .actual_access:  read_only
        .address_space:  global
        .offset:         24
        .size:           8
        .value_kind:     global_buffer
      - .actual_access:  read_only
        .address_space:  global
        .offset:         32
        .size:           8
        .value_kind:     global_buffer
      - .offset:         40
        .size:           4
        .value_kind:     by_value
      - .actual_access:  read_only
        .address_space:  global
        .offset:         48
        .size:           8
        .value_kind:     global_buffer
      - .address_space:  global
        .offset:         56
        .size:           8
        .value_kind:     global_buffer
      - .address_space:  global
        .offset:         64
        .size:           8
        .value_kind:     global_buffer
      - .actual_access:  read_only
        .address_space:  global
        .offset:         72
        .size:           8
        .value_kind:     global_buffer
      - .address_space:  global
        .offset:         80
        .size:           8
        .value_kind:     global_buffer
      - .offset:         88
        .size:           4
        .value_kind:     by_value
      - .offset:         92
        .size:           4
        .value_kind:     by_value
      - .offset:         96
        .size:           4
        .value_kind:     by_value
      - .offset:         100
        .size:           1
        .value_kind:     by_value
    .group_segment_fixed_size: 0
    .kernarg_segment_align: 8
    .kernarg_segment_size: 104
    .language:       OpenCL C
    .language_version:
      - 2
      - 0
    .max_flat_workgroup_size: 128
    .name:           _ZN9rocsparseL19bsrsv_upper_generalILj128ELj32ELb1EdEEviNS_24const_host_device_scalarIT2_EEPKiS5_PKS2_iS7_PS2_PiS9_S9_21rocsparse_index_base_20rocsparse_diag_type_20rocsparse_direction_b
    .private_segment_fixed_size: 0
    .sgpr_count:     39
    .sgpr_spill_count: 0
    .symbol:         _ZN9rocsparseL19bsrsv_upper_generalILj128ELj32ELb1EdEEviNS_24const_host_device_scalarIT2_EEPKiS5_PKS2_iS7_PS2_PiS9_S9_21rocsparse_index_base_20rocsparse_diag_type_20rocsparse_direction_b.kd
    .uniform_work_group_size: 1
    .uses_dynamic_stack: false
    .vgpr_count:     22
    .vgpr_spill_count: 0
    .wavefront_size: 64
  - .args:
      - .offset:         0
        .size:           4
        .value_kind:     by_value
      - .offset:         8
        .size:           8
        .value_kind:     by_value
      - .actual_access:  read_only
        .address_space:  global
        .offset:         16
        .size:           8
        .value_kind:     global_buffer
      - .actual_access:  read_only
        .address_space:  global
        .offset:         24
        .size:           8
        .value_kind:     global_buffer
      - .actual_access:  read_only
        .address_space:  global
        .offset:         32
        .size:           8
        .value_kind:     global_buffer
      - .offset:         40
        .size:           4
        .value_kind:     by_value
      - .actual_access:  read_only
        .address_space:  global
        .offset:         48
        .size:           8
        .value_kind:     global_buffer
      - .address_space:  global
        .offset:         56
        .size:           8
        .value_kind:     global_buffer
      - .address_space:  global
        .offset:         64
        .size:           8
        .value_kind:     global_buffer
      - .actual_access:  read_only
        .address_space:  global
        .offset:         72
        .size:           8
        .value_kind:     global_buffer
      - .address_space:  global
        .offset:         80
        .size:           8
        .value_kind:     global_buffer
      - .offset:         88
        .size:           4
        .value_kind:     by_value
      - .offset:         92
        .size:           4
        .value_kind:     by_value
      - .offset:         96
        .size:           4
        .value_kind:     by_value
      - .offset:         100
        .size:           1
        .value_kind:     by_value
    .group_segment_fixed_size: 0
    .kernarg_segment_align: 8
    .kernarg_segment_size: 104
    .language:       OpenCL C
    .language_version:
      - 2
      - 0
    .max_flat_workgroup_size: 128
    .name:           _ZN9rocsparseL19bsrsv_upper_generalILj128ELj32ELb0EdEEviNS_24const_host_device_scalarIT2_EEPKiS5_PKS2_iS7_PS2_PiS9_S9_21rocsparse_index_base_20rocsparse_diag_type_20rocsparse_direction_b
    .private_segment_fixed_size: 0
    .sgpr_count:     39
    .sgpr_spill_count: 0
    .symbol:         _ZN9rocsparseL19bsrsv_upper_generalILj128ELj32ELb0EdEEviNS_24const_host_device_scalarIT2_EEPKiS5_PKS2_iS7_PS2_PiS9_S9_21rocsparse_index_base_20rocsparse_diag_type_20rocsparse_direction_b.kd
    .uniform_work_group_size: 1
    .uses_dynamic_stack: false
    .vgpr_count:     22
    .vgpr_spill_count: 0
    .wavefront_size: 64
  - .args:
      - .offset:         0
        .size:           4
        .value_kind:     by_value
      - .offset:         4
        .size:           4
        .value_kind:     by_value
      - .actual_access:  read_only
        .address_space:  global
        .offset:         8
        .size:           8
        .value_kind:     global_buffer
      - .actual_access:  read_only
        .address_space:  global
        .offset:         16
        .size:           8
        .value_kind:     global_buffer
      - .actual_access:  write_only
        .address_space:  global
        .offset:         24
        .size:           8
        .value_kind:     global_buffer
      - .offset:         32
        .size:           4
        .value_kind:     by_value
    .group_segment_fixed_size: 0
    .kernarg_segment_align: 8
    .kernarg_segment_size: 36
    .language:       OpenCL C
    .language_version:
      - 2
      - 0
    .max_flat_workgroup_size: 256
    .name:           _ZN9rocsparseL10bsr_gatherILj4ELj64ELj2Ei21rocsparse_complex_numIfEEEv20rocsparse_direction_T2_PKS4_PKT3_PS7_S4_
    .private_segment_fixed_size: 0
    .sgpr_count:     22
    .sgpr_spill_count: 0
    .symbol:         _ZN9rocsparseL10bsr_gatherILj4ELj64ELj2Ei21rocsparse_complex_numIfEEEv20rocsparse_direction_T2_PKS4_PKT3_PS7_S4_.kd
    .uniform_work_group_size: 1
    .uses_dynamic_stack: false
    .vgpr_count:     12
    .vgpr_spill_count: 0
    .wavefront_size: 64
  - .args:
      - .offset:         0
        .size:           4
        .value_kind:     by_value
      - .offset:         4
        .size:           4
        .value_kind:     by_value
      - .actual_access:  read_only
        .address_space:  global
        .offset:         8
        .size:           8
        .value_kind:     global_buffer
      - .actual_access:  read_only
        .address_space:  global
        .offset:         16
        .size:           8
        .value_kind:     global_buffer
      - .actual_access:  write_only
        .address_space:  global
        .offset:         24
        .size:           8
        .value_kind:     global_buffer
      - .offset:         32
        .size:           4
        .value_kind:     by_value
    .group_segment_fixed_size: 0
    .kernarg_segment_align: 8
    .kernarg_segment_size: 36
    .language:       OpenCL C
    .language_version:
      - 2
      - 0
    .max_flat_workgroup_size: 256
    .name:           _ZN9rocsparseL10bsr_gatherILj16ELj16ELj4Ei21rocsparse_complex_numIfEEEv20rocsparse_direction_T2_PKS4_PKT3_PS7_S4_
    .private_segment_fixed_size: 0
    .sgpr_count:     22
    .sgpr_spill_count: 0
    .symbol:         _ZN9rocsparseL10bsr_gatherILj16ELj16ELj4Ei21rocsparse_complex_numIfEEEv20rocsparse_direction_T2_PKS4_PKT3_PS7_S4_.kd
    .uniform_work_group_size: 1
    .uses_dynamic_stack: false
    .vgpr_count:     12
    .vgpr_spill_count: 0
    .wavefront_size: 64
  - .args:
      - .offset:         0
        .size:           4
        .value_kind:     by_value
      - .offset:         4
        .size:           4
        .value_kind:     by_value
      - .actual_access:  read_only
        .address_space:  global
        .offset:         8
        .size:           8
        .value_kind:     global_buffer
      - .actual_access:  read_only
        .address_space:  global
        .offset:         16
        .size:           8
        .value_kind:     global_buffer
      - .actual_access:  write_only
        .address_space:  global
        .offset:         24
        .size:           8
        .value_kind:     global_buffer
      - .offset:         32
        .size:           4
        .value_kind:     by_value
    .group_segment_fixed_size: 0
    .kernarg_segment_align: 8
    .kernarg_segment_size: 36
    .language:       OpenCL C
    .language_version:
      - 2
      - 0
    .max_flat_workgroup_size: 256
    .name:           _ZN9rocsparseL10bsr_gatherILj64ELj4ELj8Ei21rocsparse_complex_numIfEEEv20rocsparse_direction_T2_PKS4_PKT3_PS7_S4_
    .private_segment_fixed_size: 0
    .sgpr_count:     22
    .sgpr_spill_count: 0
    .symbol:         _ZN9rocsparseL10bsr_gatherILj64ELj4ELj8Ei21rocsparse_complex_numIfEEEv20rocsparse_direction_T2_PKS4_PKT3_PS7_S4_.kd
    .uniform_work_group_size: 1
    .uses_dynamic_stack: false
    .vgpr_count:     12
    .vgpr_spill_count: 0
    .wavefront_size: 64
  - .args:
      - .offset:         0
        .size:           4
        .value_kind:     by_value
      - .offset:         8
        .size:           8
        .value_kind:     by_value
      - .actual_access:  read_only
        .address_space:  global
        .offset:         16
        .size:           8
        .value_kind:     global_buffer
      - .actual_access:  read_only
        .address_space:  global
        .offset:         24
        .size:           8
        .value_kind:     global_buffer
      - .actual_access:  read_only
        .address_space:  global
        .offset:         32
        .size:           8
        .value_kind:     global_buffer
      - .offset:         40
        .size:           4
        .value_kind:     by_value
      - .actual_access:  read_only
        .address_space:  global
        .offset:         48
        .size:           8
        .value_kind:     global_buffer
      - .address_space:  global
        .offset:         56
        .size:           8
        .value_kind:     global_buffer
      - .address_space:  global
        .offset:         64
        .size:           8
        .value_kind:     global_buffer
      - .actual_access:  read_only
        .address_space:  global
        .offset:         72
        .size:           8
        .value_kind:     global_buffer
      - .address_space:  global
        .offset:         80
        .size:           8
        .value_kind:     global_buffer
      - .offset:         88
        .size:           4
        .value_kind:     by_value
      - .offset:         92
        .size:           4
        .value_kind:     by_value
      - .offset:         96
        .size:           4
        .value_kind:     by_value
      - .offset:         100
        .size:           1
        .value_kind:     by_value
    .group_segment_fixed_size: 1152
    .kernarg_segment_align: 8
    .kernarg_segment_size: 104
    .language:       OpenCL C
    .language_version:
      - 2
      - 0
    .max_flat_workgroup_size: 128
    .name:           _ZN9rocsparseL18bsrsv_lower_sharedILj128ELj64ELi8ELb1E21rocsparse_complex_numIfEEEviNS_24const_host_device_scalarIT3_EEPKiS7_PKS4_iS9_PS4_PiSB_SB_21rocsparse_index_base_20rocsparse_diag_type_20rocsparse_direction_b
    .private_segment_fixed_size: 0
    .sgpr_count:     38
    .sgpr_spill_count: 0
    .symbol:         _ZN9rocsparseL18bsrsv_lower_sharedILj128ELj64ELi8ELb1E21rocsparse_complex_numIfEEEviNS_24const_host_device_scalarIT3_EEPKiS7_PKS4_iS9_PS4_PiSB_SB_21rocsparse_index_base_20rocsparse_diag_type_20rocsparse_direction_b.kd
    .uniform_work_group_size: 1
    .uses_dynamic_stack: false
    .vgpr_count:     36
    .vgpr_spill_count: 0
    .wavefront_size: 64
  - .args:
      - .offset:         0
        .size:           4
        .value_kind:     by_value
      - .offset:         8
        .size:           8
        .value_kind:     by_value
      - .actual_access:  read_only
        .address_space:  global
        .offset:         16
        .size:           8
        .value_kind:     global_buffer
      - .actual_access:  read_only
        .address_space:  global
        .offset:         24
        .size:           8
        .value_kind:     global_buffer
      - .actual_access:  read_only
        .address_space:  global
        .offset:         32
        .size:           8
        .value_kind:     global_buffer
      - .offset:         40
        .size:           4
        .value_kind:     by_value
      - .actual_access:  read_only
        .address_space:  global
        .offset:         48
        .size:           8
        .value_kind:     global_buffer
      - .address_space:  global
        .offset:         56
        .size:           8
        .value_kind:     global_buffer
      - .address_space:  global
        .offset:         64
        .size:           8
        .value_kind:     global_buffer
      - .actual_access:  read_only
        .address_space:  global
        .offset:         72
        .size:           8
        .value_kind:     global_buffer
      - .address_space:  global
        .offset:         80
        .size:           8
        .value_kind:     global_buffer
      - .offset:         88
        .size:           4
        .value_kind:     by_value
      - .offset:         92
        .size:           4
        .value_kind:     by_value
      - .offset:         96
        .size:           4
        .value_kind:     by_value
      - .offset:         100
        .size:           1
        .value_kind:     by_value
    .group_segment_fixed_size: 1152
    .kernarg_segment_align: 8
    .kernarg_segment_size: 104
    .language:       OpenCL C
    .language_version:
      - 2
      - 0
    .max_flat_workgroup_size: 128
    .name:           _ZN9rocsparseL18bsrsv_lower_sharedILj128ELj64ELi8ELb0E21rocsparse_complex_numIfEEEviNS_24const_host_device_scalarIT3_EEPKiS7_PKS4_iS9_PS4_PiSB_SB_21rocsparse_index_base_20rocsparse_diag_type_20rocsparse_direction_b
    .private_segment_fixed_size: 0
    .sgpr_count:     38
    .sgpr_spill_count: 0
    .symbol:         _ZN9rocsparseL18bsrsv_lower_sharedILj128ELj64ELi8ELb0E21rocsparse_complex_numIfEEEviNS_24const_host_device_scalarIT3_EEPKiS7_PKS4_iS9_PS4_PiSB_SB_21rocsparse_index_base_20rocsparse_diag_type_20rocsparse_direction_b.kd
    .uniform_work_group_size: 1
    .uses_dynamic_stack: false
    .vgpr_count:     36
    .vgpr_spill_count: 0
    .wavefront_size: 64
  - .args:
      - .offset:         0
        .size:           4
        .value_kind:     by_value
      - .offset:         8
        .size:           8
        .value_kind:     by_value
      - .actual_access:  read_only
        .address_space:  global
        .offset:         16
        .size:           8
        .value_kind:     global_buffer
      - .actual_access:  read_only
        .address_space:  global
        .offset:         24
        .size:           8
        .value_kind:     global_buffer
      - .actual_access:  read_only
        .address_space:  global
        .offset:         32
        .size:           8
        .value_kind:     global_buffer
      - .offset:         40
        .size:           4
        .value_kind:     by_value
      - .actual_access:  read_only
        .address_space:  global
        .offset:         48
        .size:           8
        .value_kind:     global_buffer
      - .address_space:  global
        .offset:         56
        .size:           8
        .value_kind:     global_buffer
      - .address_space:  global
        .offset:         64
        .size:           8
        .value_kind:     global_buffer
      - .actual_access:  read_only
        .address_space:  global
        .offset:         72
        .size:           8
        .value_kind:     global_buffer
      - .address_space:  global
        .offset:         80
        .size:           8
        .value_kind:     global_buffer
      - .offset:         88
        .size:           4
        .value_kind:     by_value
      - .offset:         92
        .size:           4
        .value_kind:     by_value
      - .offset:         96
        .size:           4
        .value_kind:     by_value
      - .offset:         100
        .size:           1
        .value_kind:     by_value
    .group_segment_fixed_size: 1152
    .kernarg_segment_align: 8
    .kernarg_segment_size: 104
    .language:       OpenCL C
    .language_version:
      - 2
      - 0
    .max_flat_workgroup_size: 128
    .name:           _ZN9rocsparseL18bsrsv_upper_sharedILj128ELj64ELi8ELb1E21rocsparse_complex_numIfEEEviNS_24const_host_device_scalarIT3_EEPKiS7_PKS4_iS9_PS4_PiSB_SB_21rocsparse_index_base_20rocsparse_diag_type_20rocsparse_direction_b
    .private_segment_fixed_size: 0
    .sgpr_count:     38
    .sgpr_spill_count: 0
    .symbol:         _ZN9rocsparseL18bsrsv_upper_sharedILj128ELj64ELi8ELb1E21rocsparse_complex_numIfEEEviNS_24const_host_device_scalarIT3_EEPKiS7_PKS4_iS9_PS4_PiSB_SB_21rocsparse_index_base_20rocsparse_diag_type_20rocsparse_direction_b.kd
    .uniform_work_group_size: 1
    .uses_dynamic_stack: false
    .vgpr_count:     37
    .vgpr_spill_count: 0
    .wavefront_size: 64
  - .args:
      - .offset:         0
        .size:           4
        .value_kind:     by_value
      - .offset:         8
        .size:           8
        .value_kind:     by_value
      - .actual_access:  read_only
        .address_space:  global
        .offset:         16
        .size:           8
        .value_kind:     global_buffer
      - .actual_access:  read_only
        .address_space:  global
        .offset:         24
        .size:           8
        .value_kind:     global_buffer
      - .actual_access:  read_only
        .address_space:  global
        .offset:         32
        .size:           8
        .value_kind:     global_buffer
      - .offset:         40
        .size:           4
        .value_kind:     by_value
      - .actual_access:  read_only
        .address_space:  global
        .offset:         48
        .size:           8
        .value_kind:     global_buffer
      - .address_space:  global
        .offset:         56
        .size:           8
        .value_kind:     global_buffer
      - .address_space:  global
        .offset:         64
        .size:           8
        .value_kind:     global_buffer
      - .actual_access:  read_only
        .address_space:  global
        .offset:         72
        .size:           8
        .value_kind:     global_buffer
      - .address_space:  global
        .offset:         80
        .size:           8
        .value_kind:     global_buffer
      - .offset:         88
        .size:           4
        .value_kind:     by_value
      - .offset:         92
        .size:           4
        .value_kind:     by_value
      - .offset:         96
        .size:           4
        .value_kind:     by_value
      - .offset:         100
        .size:           1
        .value_kind:     by_value
    .group_segment_fixed_size: 1152
    .kernarg_segment_align: 8
    .kernarg_segment_size: 104
    .language:       OpenCL C
    .language_version:
      - 2
      - 0
    .max_flat_workgroup_size: 128
    .name:           _ZN9rocsparseL18bsrsv_upper_sharedILj128ELj64ELi8ELb0E21rocsparse_complex_numIfEEEviNS_24const_host_device_scalarIT3_EEPKiS7_PKS4_iS9_PS4_PiSB_SB_21rocsparse_index_base_20rocsparse_diag_type_20rocsparse_direction_b
    .private_segment_fixed_size: 0
    .sgpr_count:     38
    .sgpr_spill_count: 0
    .symbol:         _ZN9rocsparseL18bsrsv_upper_sharedILj128ELj64ELi8ELb0E21rocsparse_complex_numIfEEEviNS_24const_host_device_scalarIT3_EEPKiS7_PKS4_iS9_PS4_PiSB_SB_21rocsparse_index_base_20rocsparse_diag_type_20rocsparse_direction_b.kd
    .uniform_work_group_size: 1
    .uses_dynamic_stack: false
    .vgpr_count:     37
    .vgpr_spill_count: 0
    .wavefront_size: 64
  - .args:
      - .offset:         0
        .size:           4
        .value_kind:     by_value
      - .offset:         8
        .size:           8
        .value_kind:     by_value
      - .actual_access:  read_only
        .address_space:  global
        .offset:         16
        .size:           8
        .value_kind:     global_buffer
      - .actual_access:  read_only
        .address_space:  global
        .offset:         24
        .size:           8
        .value_kind:     global_buffer
      - .actual_access:  read_only
        .address_space:  global
        .offset:         32
        .size:           8
        .value_kind:     global_buffer
      - .offset:         40
        .size:           4
        .value_kind:     by_value
      - .actual_access:  read_only
        .address_space:  global
        .offset:         48
        .size:           8
        .value_kind:     global_buffer
      - .address_space:  global
        .offset:         56
        .size:           8
        .value_kind:     global_buffer
      - .address_space:  global
        .offset:         64
        .size:           8
        .value_kind:     global_buffer
      - .actual_access:  read_only
        .address_space:  global
        .offset:         72
        .size:           8
        .value_kind:     global_buffer
      - .address_space:  global
        .offset:         80
        .size:           8
        .value_kind:     global_buffer
      - .offset:         88
        .size:           4
        .value_kind:     by_value
      - .offset:         92
        .size:           4
        .value_kind:     by_value
      - .offset:         96
        .size:           4
        .value_kind:     by_value
      - .offset:         100
        .size:           1
        .value_kind:     by_value
    .group_segment_fixed_size: 4352
    .kernarg_segment_align: 8
    .kernarg_segment_size: 104
    .language:       OpenCL C
    .language_version:
      - 2
      - 0
    .max_flat_workgroup_size: 128
    .name:           _ZN9rocsparseL18bsrsv_lower_sharedILj128ELj64ELi16ELb1E21rocsparse_complex_numIfEEEviNS_24const_host_device_scalarIT3_EEPKiS7_PKS4_iS9_PS4_PiSB_SB_21rocsparse_index_base_20rocsparse_diag_type_20rocsparse_direction_b
    .private_segment_fixed_size: 0
    .sgpr_count:     39
    .sgpr_spill_count: 0
    .symbol:         _ZN9rocsparseL18bsrsv_lower_sharedILj128ELj64ELi16ELb1E21rocsparse_complex_numIfEEEviNS_24const_host_device_scalarIT3_EEPKiS7_PKS4_iS9_PS4_PiSB_SB_21rocsparse_index_base_20rocsparse_diag_type_20rocsparse_direction_b.kd
    .uniform_work_group_size: 1
    .uses_dynamic_stack: false
    .vgpr_count:     44
    .vgpr_spill_count: 0
    .wavefront_size: 64
  - .args:
      - .offset:         0
        .size:           4
        .value_kind:     by_value
      - .offset:         8
        .size:           8
        .value_kind:     by_value
      - .actual_access:  read_only
        .address_space:  global
        .offset:         16
        .size:           8
        .value_kind:     global_buffer
      - .actual_access:  read_only
        .address_space:  global
        .offset:         24
        .size:           8
        .value_kind:     global_buffer
      - .actual_access:  read_only
        .address_space:  global
        .offset:         32
        .size:           8
        .value_kind:     global_buffer
      - .offset:         40
        .size:           4
        .value_kind:     by_value
      - .actual_access:  read_only
        .address_space:  global
        .offset:         48
        .size:           8
        .value_kind:     global_buffer
      - .address_space:  global
        .offset:         56
        .size:           8
        .value_kind:     global_buffer
      - .address_space:  global
        .offset:         64
        .size:           8
        .value_kind:     global_buffer
      - .actual_access:  read_only
        .address_space:  global
        .offset:         72
        .size:           8
        .value_kind:     global_buffer
      - .address_space:  global
        .offset:         80
        .size:           8
        .value_kind:     global_buffer
      - .offset:         88
        .size:           4
        .value_kind:     by_value
      - .offset:         92
        .size:           4
        .value_kind:     by_value
      - .offset:         96
        .size:           4
        .value_kind:     by_value
      - .offset:         100
        .size:           1
        .value_kind:     by_value
    .group_segment_fixed_size: 4352
    .kernarg_segment_align: 8
    .kernarg_segment_size: 104
    .language:       OpenCL C
    .language_version:
      - 2
      - 0
    .max_flat_workgroup_size: 128
    .name:           _ZN9rocsparseL18bsrsv_lower_sharedILj128ELj64ELi16ELb0E21rocsparse_complex_numIfEEEviNS_24const_host_device_scalarIT3_EEPKiS7_PKS4_iS9_PS4_PiSB_SB_21rocsparse_index_base_20rocsparse_diag_type_20rocsparse_direction_b
    .private_segment_fixed_size: 0
    .sgpr_count:     39
    .sgpr_spill_count: 0
    .symbol:         _ZN9rocsparseL18bsrsv_lower_sharedILj128ELj64ELi16ELb0E21rocsparse_complex_numIfEEEviNS_24const_host_device_scalarIT3_EEPKiS7_PKS4_iS9_PS4_PiSB_SB_21rocsparse_index_base_20rocsparse_diag_type_20rocsparse_direction_b.kd
    .uniform_work_group_size: 1
    .uses_dynamic_stack: false
    .vgpr_count:     44
    .vgpr_spill_count: 0
    .wavefront_size: 64
  - .args:
      - .offset:         0
        .size:           4
        .value_kind:     by_value
      - .offset:         8
        .size:           8
        .value_kind:     by_value
      - .actual_access:  read_only
        .address_space:  global
        .offset:         16
        .size:           8
        .value_kind:     global_buffer
      - .actual_access:  read_only
        .address_space:  global
        .offset:         24
        .size:           8
        .value_kind:     global_buffer
      - .actual_access:  read_only
        .address_space:  global
        .offset:         32
        .size:           8
        .value_kind:     global_buffer
      - .offset:         40
        .size:           4
        .value_kind:     by_value
      - .actual_access:  read_only
        .address_space:  global
        .offset:         48
        .size:           8
        .value_kind:     global_buffer
      - .address_space:  global
        .offset:         56
        .size:           8
        .value_kind:     global_buffer
      - .address_space:  global
        .offset:         64
        .size:           8
        .value_kind:     global_buffer
      - .actual_access:  read_only
        .address_space:  global
        .offset:         72
        .size:           8
        .value_kind:     global_buffer
      - .address_space:  global
        .offset:         80
        .size:           8
        .value_kind:     global_buffer
      - .offset:         88
        .size:           4
        .value_kind:     by_value
      - .offset:         92
        .size:           4
        .value_kind:     by_value
      - .offset:         96
        .size:           4
        .value_kind:     by_value
      - .offset:         100
        .size:           1
        .value_kind:     by_value
    .group_segment_fixed_size: 4352
    .kernarg_segment_align: 8
    .kernarg_segment_size: 104
    .language:       OpenCL C
    .language_version:
      - 2
      - 0
    .max_flat_workgroup_size: 128
    .name:           _ZN9rocsparseL18bsrsv_upper_sharedILj128ELj64ELi16ELb1E21rocsparse_complex_numIfEEEviNS_24const_host_device_scalarIT3_EEPKiS7_PKS4_iS9_PS4_PiSB_SB_21rocsparse_index_base_20rocsparse_diag_type_20rocsparse_direction_b
    .private_segment_fixed_size: 0
    .sgpr_count:     39
    .sgpr_spill_count: 0
    .symbol:         _ZN9rocsparseL18bsrsv_upper_sharedILj128ELj64ELi16ELb1E21rocsparse_complex_numIfEEEviNS_24const_host_device_scalarIT3_EEPKiS7_PKS4_iS9_PS4_PiSB_SB_21rocsparse_index_base_20rocsparse_diag_type_20rocsparse_direction_b.kd
    .uniform_work_group_size: 1
    .uses_dynamic_stack: false
    .vgpr_count:     45
    .vgpr_spill_count: 0
    .wavefront_size: 64
  - .args:
      - .offset:         0
        .size:           4
        .value_kind:     by_value
      - .offset:         8
        .size:           8
        .value_kind:     by_value
      - .actual_access:  read_only
        .address_space:  global
        .offset:         16
        .size:           8
        .value_kind:     global_buffer
      - .actual_access:  read_only
        .address_space:  global
        .offset:         24
        .size:           8
        .value_kind:     global_buffer
      - .actual_access:  read_only
        .address_space:  global
        .offset:         32
        .size:           8
        .value_kind:     global_buffer
      - .offset:         40
        .size:           4
        .value_kind:     by_value
      - .actual_access:  read_only
        .address_space:  global
        .offset:         48
        .size:           8
        .value_kind:     global_buffer
      - .address_space:  global
        .offset:         56
        .size:           8
        .value_kind:     global_buffer
      - .address_space:  global
        .offset:         64
        .size:           8
        .value_kind:     global_buffer
      - .actual_access:  read_only
        .address_space:  global
        .offset:         72
        .size:           8
        .value_kind:     global_buffer
      - .address_space:  global
        .offset:         80
        .size:           8
        .value_kind:     global_buffer
      - .offset:         88
        .size:           4
        .value_kind:     by_value
      - .offset:         92
        .size:           4
        .value_kind:     by_value
      - .offset:         96
        .size:           4
        .value_kind:     by_value
      - .offset:         100
        .size:           1
        .value_kind:     by_value
    .group_segment_fixed_size: 4352
    .kernarg_segment_align: 8
    .kernarg_segment_size: 104
    .language:       OpenCL C
    .language_version:
      - 2
      - 0
    .max_flat_workgroup_size: 128
    .name:           _ZN9rocsparseL18bsrsv_upper_sharedILj128ELj64ELi16ELb0E21rocsparse_complex_numIfEEEviNS_24const_host_device_scalarIT3_EEPKiS7_PKS4_iS9_PS4_PiSB_SB_21rocsparse_index_base_20rocsparse_diag_type_20rocsparse_direction_b
    .private_segment_fixed_size: 0
    .sgpr_count:     39
    .sgpr_spill_count: 0
    .symbol:         _ZN9rocsparseL18bsrsv_upper_sharedILj128ELj64ELi16ELb0E21rocsparse_complex_numIfEEEviNS_24const_host_device_scalarIT3_EEPKiS7_PKS4_iS9_PS4_PiSB_SB_21rocsparse_index_base_20rocsparse_diag_type_20rocsparse_direction_b.kd
    .uniform_work_group_size: 1
    .uses_dynamic_stack: false
    .vgpr_count:     45
    .vgpr_spill_count: 0
    .wavefront_size: 64
  - .args:
      - .offset:         0
        .size:           4
        .value_kind:     by_value
      - .offset:         8
        .size:           8
        .value_kind:     by_value
      - .actual_access:  read_only
        .address_space:  global
        .offset:         16
        .size:           8
        .value_kind:     global_buffer
      - .actual_access:  read_only
        .address_space:  global
        .offset:         24
        .size:           8
        .value_kind:     global_buffer
      - .actual_access:  read_only
        .address_space:  global
        .offset:         32
        .size:           8
        .value_kind:     global_buffer
      - .offset:         40
        .size:           4
        .value_kind:     by_value
      - .actual_access:  read_only
        .address_space:  global
        .offset:         48
        .size:           8
        .value_kind:     global_buffer
      - .address_space:  global
        .offset:         56
        .size:           8
        .value_kind:     global_buffer
      - .address_space:  global
        .offset:         64
        .size:           8
        .value_kind:     global_buffer
      - .actual_access:  read_only
        .address_space:  global
        .offset:         72
        .size:           8
        .value_kind:     global_buffer
      - .address_space:  global
        .offset:         80
        .size:           8
        .value_kind:     global_buffer
      - .offset:         88
        .size:           4
        .value_kind:     by_value
      - .offset:         92
        .size:           4
        .value_kind:     by_value
      - .offset:         96
        .size:           4
        .value_kind:     by_value
      - .offset:         100
        .size:           1
        .value_kind:     by_value
    .group_segment_fixed_size: 16896
    .kernarg_segment_align: 8
    .kernarg_segment_size: 104
    .language:       OpenCL C
    .language_version:
      - 2
      - 0
    .max_flat_workgroup_size: 128
    .name:           _ZN9rocsparseL18bsrsv_lower_sharedILj128ELj64ELi32ELb1E21rocsparse_complex_numIfEEEviNS_24const_host_device_scalarIT3_EEPKiS7_PKS4_iS9_PS4_PiSB_SB_21rocsparse_index_base_20rocsparse_diag_type_20rocsparse_direction_b
    .private_segment_fixed_size: 0
    .sgpr_count:     39
    .sgpr_spill_count: 0
    .symbol:         _ZN9rocsparseL18bsrsv_lower_sharedILj128ELj64ELi32ELb1E21rocsparse_complex_numIfEEEviNS_24const_host_device_scalarIT3_EEPKiS7_PKS4_iS9_PS4_PiSB_SB_21rocsparse_index_base_20rocsparse_diag_type_20rocsparse_direction_b.kd
    .uniform_work_group_size: 1
    .uses_dynamic_stack: false
    .vgpr_count:     48
    .vgpr_spill_count: 0
    .wavefront_size: 64
  - .args:
      - .offset:         0
        .size:           4
        .value_kind:     by_value
      - .offset:         8
        .size:           8
        .value_kind:     by_value
      - .actual_access:  read_only
        .address_space:  global
        .offset:         16
        .size:           8
        .value_kind:     global_buffer
      - .actual_access:  read_only
        .address_space:  global
        .offset:         24
        .size:           8
        .value_kind:     global_buffer
      - .actual_access:  read_only
        .address_space:  global
        .offset:         32
        .size:           8
        .value_kind:     global_buffer
      - .offset:         40
        .size:           4
        .value_kind:     by_value
      - .actual_access:  read_only
        .address_space:  global
        .offset:         48
        .size:           8
        .value_kind:     global_buffer
      - .address_space:  global
        .offset:         56
        .size:           8
        .value_kind:     global_buffer
      - .address_space:  global
        .offset:         64
        .size:           8
        .value_kind:     global_buffer
      - .actual_access:  read_only
        .address_space:  global
        .offset:         72
        .size:           8
        .value_kind:     global_buffer
      - .address_space:  global
        .offset:         80
        .size:           8
        .value_kind:     global_buffer
      - .offset:         88
        .size:           4
        .value_kind:     by_value
      - .offset:         92
        .size:           4
        .value_kind:     by_value
      - .offset:         96
        .size:           4
        .value_kind:     by_value
      - .offset:         100
        .size:           1
        .value_kind:     by_value
    .group_segment_fixed_size: 16896
    .kernarg_segment_align: 8
    .kernarg_segment_size: 104
    .language:       OpenCL C
    .language_version:
      - 2
      - 0
    .max_flat_workgroup_size: 128
    .name:           _ZN9rocsparseL18bsrsv_lower_sharedILj128ELj64ELi32ELb0E21rocsparse_complex_numIfEEEviNS_24const_host_device_scalarIT3_EEPKiS7_PKS4_iS9_PS4_PiSB_SB_21rocsparse_index_base_20rocsparse_diag_type_20rocsparse_direction_b
    .private_segment_fixed_size: 0
    .sgpr_count:     39
    .sgpr_spill_count: 0
    .symbol:         _ZN9rocsparseL18bsrsv_lower_sharedILj128ELj64ELi32ELb0E21rocsparse_complex_numIfEEEviNS_24const_host_device_scalarIT3_EEPKiS7_PKS4_iS9_PS4_PiSB_SB_21rocsparse_index_base_20rocsparse_diag_type_20rocsparse_direction_b.kd
    .uniform_work_group_size: 1
    .uses_dynamic_stack: false
    .vgpr_count:     48
    .vgpr_spill_count: 0
    .wavefront_size: 64
  - .args:
      - .offset:         0
        .size:           4
        .value_kind:     by_value
      - .offset:         8
        .size:           8
        .value_kind:     by_value
      - .actual_access:  read_only
        .address_space:  global
        .offset:         16
        .size:           8
        .value_kind:     global_buffer
      - .actual_access:  read_only
        .address_space:  global
        .offset:         24
        .size:           8
        .value_kind:     global_buffer
      - .actual_access:  read_only
        .address_space:  global
        .offset:         32
        .size:           8
        .value_kind:     global_buffer
      - .offset:         40
        .size:           4
        .value_kind:     by_value
      - .actual_access:  read_only
        .address_space:  global
        .offset:         48
        .size:           8
        .value_kind:     global_buffer
      - .address_space:  global
        .offset:         56
        .size:           8
        .value_kind:     global_buffer
      - .address_space:  global
        .offset:         64
        .size:           8
        .value_kind:     global_buffer
      - .actual_access:  read_only
        .address_space:  global
        .offset:         72
        .size:           8
        .value_kind:     global_buffer
      - .address_space:  global
        .offset:         80
        .size:           8
        .value_kind:     global_buffer
      - .offset:         88
        .size:           4
        .value_kind:     by_value
      - .offset:         92
        .size:           4
        .value_kind:     by_value
      - .offset:         96
        .size:           4
        .value_kind:     by_value
      - .offset:         100
        .size:           1
        .value_kind:     by_value
    .group_segment_fixed_size: 16896
    .kernarg_segment_align: 8
    .kernarg_segment_size: 104
    .language:       OpenCL C
    .language_version:
      - 2
      - 0
    .max_flat_workgroup_size: 128
    .name:           _ZN9rocsparseL18bsrsv_upper_sharedILj128ELj64ELi32ELb1E21rocsparse_complex_numIfEEEviNS_24const_host_device_scalarIT3_EEPKiS7_PKS4_iS9_PS4_PiSB_SB_21rocsparse_index_base_20rocsparse_diag_type_20rocsparse_direction_b
    .private_segment_fixed_size: 0
    .sgpr_count:     39
    .sgpr_spill_count: 0
    .symbol:         _ZN9rocsparseL18bsrsv_upper_sharedILj128ELj64ELi32ELb1E21rocsparse_complex_numIfEEEviNS_24const_host_device_scalarIT3_EEPKiS7_PKS4_iS9_PS4_PiSB_SB_21rocsparse_index_base_20rocsparse_diag_type_20rocsparse_direction_b.kd
    .uniform_work_group_size: 1
    .uses_dynamic_stack: false
    .vgpr_count:     49
    .vgpr_spill_count: 0
    .wavefront_size: 64
  - .args:
      - .offset:         0
        .size:           4
        .value_kind:     by_value
      - .offset:         8
        .size:           8
        .value_kind:     by_value
      - .actual_access:  read_only
        .address_space:  global
        .offset:         16
        .size:           8
        .value_kind:     global_buffer
      - .actual_access:  read_only
        .address_space:  global
        .offset:         24
        .size:           8
        .value_kind:     global_buffer
      - .actual_access:  read_only
        .address_space:  global
        .offset:         32
        .size:           8
        .value_kind:     global_buffer
      - .offset:         40
        .size:           4
        .value_kind:     by_value
      - .actual_access:  read_only
        .address_space:  global
        .offset:         48
        .size:           8
        .value_kind:     global_buffer
      - .address_space:  global
        .offset:         56
        .size:           8
        .value_kind:     global_buffer
      - .address_space:  global
        .offset:         64
        .size:           8
        .value_kind:     global_buffer
      - .actual_access:  read_only
        .address_space:  global
        .offset:         72
        .size:           8
        .value_kind:     global_buffer
      - .address_space:  global
        .offset:         80
        .size:           8
        .value_kind:     global_buffer
      - .offset:         88
        .size:           4
        .value_kind:     by_value
      - .offset:         92
        .size:           4
        .value_kind:     by_value
      - .offset:         96
        .size:           4
        .value_kind:     by_value
      - .offset:         100
        .size:           1
        .value_kind:     by_value
    .group_segment_fixed_size: 16896
    .kernarg_segment_align: 8
    .kernarg_segment_size: 104
    .language:       OpenCL C
    .language_version:
      - 2
      - 0
    .max_flat_workgroup_size: 128
    .name:           _ZN9rocsparseL18bsrsv_upper_sharedILj128ELj64ELi32ELb0E21rocsparse_complex_numIfEEEviNS_24const_host_device_scalarIT3_EEPKiS7_PKS4_iS9_PS4_PiSB_SB_21rocsparse_index_base_20rocsparse_diag_type_20rocsparse_direction_b
    .private_segment_fixed_size: 0
    .sgpr_count:     39
    .sgpr_spill_count: 0
    .symbol:         _ZN9rocsparseL18bsrsv_upper_sharedILj128ELj64ELi32ELb0E21rocsparse_complex_numIfEEEviNS_24const_host_device_scalarIT3_EEPKiS7_PKS4_iS9_PS4_PiSB_SB_21rocsparse_index_base_20rocsparse_diag_type_20rocsparse_direction_b.kd
    .uniform_work_group_size: 1
    .uses_dynamic_stack: false
    .vgpr_count:     49
    .vgpr_spill_count: 0
    .wavefront_size: 64
  - .args:
      - .offset:         0
        .size:           4
        .value_kind:     by_value
      - .offset:         8
        .size:           8
        .value_kind:     by_value
      - .actual_access:  read_only
        .address_space:  global
        .offset:         16
        .size:           8
        .value_kind:     global_buffer
      - .actual_access:  read_only
        .address_space:  global
        .offset:         24
        .size:           8
        .value_kind:     global_buffer
      - .actual_access:  read_only
        .address_space:  global
        .offset:         32
        .size:           8
        .value_kind:     global_buffer
      - .offset:         40
        .size:           4
        .value_kind:     by_value
      - .actual_access:  read_only
        .address_space:  global
        .offset:         48
        .size:           8
        .value_kind:     global_buffer
      - .address_space:  global
        .offset:         56
        .size:           8
        .value_kind:     global_buffer
      - .address_space:  global
        .offset:         64
        .size:           8
        .value_kind:     global_buffer
      - .actual_access:  read_only
        .address_space:  global
        .offset:         72
        .size:           8
        .value_kind:     global_buffer
      - .address_space:  global
        .offset:         80
        .size:           8
        .value_kind:     global_buffer
      - .offset:         88
        .size:           4
        .value_kind:     by_value
      - .offset:         92
        .size:           4
        .value_kind:     by_value
      - .offset:         96
        .size:           4
        .value_kind:     by_value
      - .offset:         100
        .size:           1
        .value_kind:     by_value
    .group_segment_fixed_size: 0
    .kernarg_segment_align: 8
    .kernarg_segment_size: 104
    .language:       OpenCL C
    .language_version:
      - 2
      - 0
    .max_flat_workgroup_size: 128
    .name:           _ZN9rocsparseL19bsrsv_lower_generalILj128ELj64ELb1E21rocsparse_complex_numIfEEEviNS_24const_host_device_scalarIT2_EEPKiS7_PKS4_iS9_PS4_PiSB_SB_21rocsparse_index_base_20rocsparse_diag_type_20rocsparse_direction_b
    .private_segment_fixed_size: 0
    .sgpr_count:     39
    .sgpr_spill_count: 0
    .symbol:         _ZN9rocsparseL19bsrsv_lower_generalILj128ELj64ELb1E21rocsparse_complex_numIfEEEviNS_24const_host_device_scalarIT2_EEPKiS7_PKS4_iS9_PS4_PiSB_SB_21rocsparse_index_base_20rocsparse_diag_type_20rocsparse_direction_b.kd
    .uniform_work_group_size: 1
    .uses_dynamic_stack: false
    .vgpr_count:     21
    .vgpr_spill_count: 0
    .wavefront_size: 64
  - .args:
      - .offset:         0
        .size:           4
        .value_kind:     by_value
      - .offset:         8
        .size:           8
        .value_kind:     by_value
      - .actual_access:  read_only
        .address_space:  global
        .offset:         16
        .size:           8
        .value_kind:     global_buffer
      - .actual_access:  read_only
        .address_space:  global
        .offset:         24
        .size:           8
        .value_kind:     global_buffer
      - .actual_access:  read_only
        .address_space:  global
        .offset:         32
        .size:           8
        .value_kind:     global_buffer
      - .offset:         40
        .size:           4
        .value_kind:     by_value
      - .actual_access:  read_only
        .address_space:  global
        .offset:         48
        .size:           8
        .value_kind:     global_buffer
      - .address_space:  global
        .offset:         56
        .size:           8
        .value_kind:     global_buffer
      - .address_space:  global
        .offset:         64
        .size:           8
        .value_kind:     global_buffer
      - .actual_access:  read_only
        .address_space:  global
        .offset:         72
        .size:           8
        .value_kind:     global_buffer
      - .address_space:  global
        .offset:         80
        .size:           8
        .value_kind:     global_buffer
      - .offset:         88
        .size:           4
        .value_kind:     by_value
      - .offset:         92
        .size:           4
        .value_kind:     by_value
      - .offset:         96
        .size:           4
        .value_kind:     by_value
      - .offset:         100
        .size:           1
        .value_kind:     by_value
    .group_segment_fixed_size: 0
    .kernarg_segment_align: 8
    .kernarg_segment_size: 104
    .language:       OpenCL C
    .language_version:
      - 2
      - 0
    .max_flat_workgroup_size: 128
    .name:           _ZN9rocsparseL19bsrsv_lower_generalILj128ELj64ELb0E21rocsparse_complex_numIfEEEviNS_24const_host_device_scalarIT2_EEPKiS7_PKS4_iS9_PS4_PiSB_SB_21rocsparse_index_base_20rocsparse_diag_type_20rocsparse_direction_b
    .private_segment_fixed_size: 0
    .sgpr_count:     39
    .sgpr_spill_count: 0
    .symbol:         _ZN9rocsparseL19bsrsv_lower_generalILj128ELj64ELb0E21rocsparse_complex_numIfEEEviNS_24const_host_device_scalarIT2_EEPKiS7_PKS4_iS9_PS4_PiSB_SB_21rocsparse_index_base_20rocsparse_diag_type_20rocsparse_direction_b.kd
    .uniform_work_group_size: 1
    .uses_dynamic_stack: false
    .vgpr_count:     21
    .vgpr_spill_count: 0
    .wavefront_size: 64
  - .args:
      - .offset:         0
        .size:           4
        .value_kind:     by_value
      - .offset:         8
        .size:           8
        .value_kind:     by_value
      - .actual_access:  read_only
        .address_space:  global
        .offset:         16
        .size:           8
        .value_kind:     global_buffer
      - .actual_access:  read_only
        .address_space:  global
        .offset:         24
        .size:           8
        .value_kind:     global_buffer
      - .actual_access:  read_only
        .address_space:  global
        .offset:         32
        .size:           8
        .value_kind:     global_buffer
      - .offset:         40
        .size:           4
        .value_kind:     by_value
      - .actual_access:  read_only
        .address_space:  global
        .offset:         48
        .size:           8
        .value_kind:     global_buffer
      - .address_space:  global
        .offset:         56
        .size:           8
        .value_kind:     global_buffer
      - .address_space:  global
        .offset:         64
        .size:           8
        .value_kind:     global_buffer
      - .actual_access:  read_only
        .address_space:  global
        .offset:         72
        .size:           8
        .value_kind:     global_buffer
      - .address_space:  global
        .offset:         80
        .size:           8
        .value_kind:     global_buffer
      - .offset:         88
        .size:           4
        .value_kind:     by_value
      - .offset:         92
        .size:           4
        .value_kind:     by_value
      - .offset:         96
        .size:           4
        .value_kind:     by_value
      - .offset:         100
        .size:           1
        .value_kind:     by_value
    .group_segment_fixed_size: 0
    .kernarg_segment_align: 8
    .kernarg_segment_size: 104
    .language:       OpenCL C
    .language_version:
      - 2
      - 0
    .max_flat_workgroup_size: 128
    .name:           _ZN9rocsparseL19bsrsv_upper_generalILj128ELj64ELb1E21rocsparse_complex_numIfEEEviNS_24const_host_device_scalarIT2_EEPKiS7_PKS4_iS9_PS4_PiSB_SB_21rocsparse_index_base_20rocsparse_diag_type_20rocsparse_direction_b
    .private_segment_fixed_size: 0
    .sgpr_count:     39
    .sgpr_spill_count: 0
    .symbol:         _ZN9rocsparseL19bsrsv_upper_generalILj128ELj64ELb1E21rocsparse_complex_numIfEEEviNS_24const_host_device_scalarIT2_EEPKiS7_PKS4_iS9_PS4_PiSB_SB_21rocsparse_index_base_20rocsparse_diag_type_20rocsparse_direction_b.kd
    .uniform_work_group_size: 1
    .uses_dynamic_stack: false
    .vgpr_count:     21
    .vgpr_spill_count: 0
    .wavefront_size: 64
  - .args:
      - .offset:         0
        .size:           4
        .value_kind:     by_value
      - .offset:         8
        .size:           8
        .value_kind:     by_value
      - .actual_access:  read_only
        .address_space:  global
        .offset:         16
        .size:           8
        .value_kind:     global_buffer
      - .actual_access:  read_only
        .address_space:  global
        .offset:         24
        .size:           8
        .value_kind:     global_buffer
      - .actual_access:  read_only
        .address_space:  global
        .offset:         32
        .size:           8
        .value_kind:     global_buffer
      - .offset:         40
        .size:           4
        .value_kind:     by_value
      - .actual_access:  read_only
        .address_space:  global
        .offset:         48
        .size:           8
        .value_kind:     global_buffer
      - .address_space:  global
        .offset:         56
        .size:           8
        .value_kind:     global_buffer
      - .address_space:  global
        .offset:         64
        .size:           8
        .value_kind:     global_buffer
      - .actual_access:  read_only
        .address_space:  global
        .offset:         72
        .size:           8
        .value_kind:     global_buffer
      - .address_space:  global
        .offset:         80
        .size:           8
        .value_kind:     global_buffer
      - .offset:         88
        .size:           4
        .value_kind:     by_value
      - .offset:         92
        .size:           4
        .value_kind:     by_value
      - .offset:         96
        .size:           4
        .value_kind:     by_value
      - .offset:         100
        .size:           1
        .value_kind:     by_value
    .group_segment_fixed_size: 0
    .kernarg_segment_align: 8
    .kernarg_segment_size: 104
    .language:       OpenCL C
    .language_version:
      - 2
      - 0
    .max_flat_workgroup_size: 128
    .name:           _ZN9rocsparseL19bsrsv_upper_generalILj128ELj64ELb0E21rocsparse_complex_numIfEEEviNS_24const_host_device_scalarIT2_EEPKiS7_PKS4_iS9_PS4_PiSB_SB_21rocsparse_index_base_20rocsparse_diag_type_20rocsparse_direction_b
    .private_segment_fixed_size: 0
    .sgpr_count:     39
    .sgpr_spill_count: 0
    .symbol:         _ZN9rocsparseL19bsrsv_upper_generalILj128ELj64ELb0E21rocsparse_complex_numIfEEEviNS_24const_host_device_scalarIT2_EEPKiS7_PKS4_iS9_PS4_PiSB_SB_21rocsparse_index_base_20rocsparse_diag_type_20rocsparse_direction_b.kd
    .uniform_work_group_size: 1
    .uses_dynamic_stack: false
    .vgpr_count:     21
    .vgpr_spill_count: 0
    .wavefront_size: 64
  - .args:
      - .offset:         0
        .size:           4
        .value_kind:     by_value
      - .offset:         8
        .size:           8
        .value_kind:     by_value
      - .actual_access:  read_only
        .address_space:  global
        .offset:         16
        .size:           8
        .value_kind:     global_buffer
      - .actual_access:  read_only
        .address_space:  global
        .offset:         24
        .size:           8
        .value_kind:     global_buffer
      - .actual_access:  read_only
        .address_space:  global
        .offset:         32
        .size:           8
        .value_kind:     global_buffer
      - .offset:         40
        .size:           4
        .value_kind:     by_value
      - .actual_access:  read_only
        .address_space:  global
        .offset:         48
        .size:           8
        .value_kind:     global_buffer
      - .address_space:  global
        .offset:         56
        .size:           8
        .value_kind:     global_buffer
      - .address_space:  global
        .offset:         64
        .size:           8
        .value_kind:     global_buffer
      - .actual_access:  read_only
        .address_space:  global
        .offset:         72
        .size:           8
        .value_kind:     global_buffer
      - .address_space:  global
        .offset:         80
        .size:           8
        .value_kind:     global_buffer
      - .offset:         88
        .size:           4
        .value_kind:     by_value
      - .offset:         92
        .size:           4
        .value_kind:     by_value
      - .offset:         96
        .size:           4
        .value_kind:     by_value
      - .offset:         100
        .size:           1
        .value_kind:     by_value
    .group_segment_fixed_size: 0
    .kernarg_segment_align: 8
    .kernarg_segment_size: 104
    .language:       OpenCL C
    .language_version:
      - 2
      - 0
    .max_flat_workgroup_size: 128
    .name:           _ZN9rocsparseL19bsrsv_lower_generalILj128ELj32ELb1E21rocsparse_complex_numIfEEEviNS_24const_host_device_scalarIT2_EEPKiS7_PKS4_iS9_PS4_PiSB_SB_21rocsparse_index_base_20rocsparse_diag_type_20rocsparse_direction_b
    .private_segment_fixed_size: 0
    .sgpr_count:     39
    .sgpr_spill_count: 0
    .symbol:         _ZN9rocsparseL19bsrsv_lower_generalILj128ELj32ELb1E21rocsparse_complex_numIfEEEviNS_24const_host_device_scalarIT2_EEPKiS7_PKS4_iS9_PS4_PiSB_SB_21rocsparse_index_base_20rocsparse_diag_type_20rocsparse_direction_b.kd
    .uniform_work_group_size: 1
    .uses_dynamic_stack: false
    .vgpr_count:     21
    .vgpr_spill_count: 0
    .wavefront_size: 64
  - .args:
      - .offset:         0
        .size:           4
        .value_kind:     by_value
      - .offset:         8
        .size:           8
        .value_kind:     by_value
      - .actual_access:  read_only
        .address_space:  global
        .offset:         16
        .size:           8
        .value_kind:     global_buffer
      - .actual_access:  read_only
        .address_space:  global
        .offset:         24
        .size:           8
        .value_kind:     global_buffer
      - .actual_access:  read_only
        .address_space:  global
        .offset:         32
        .size:           8
        .value_kind:     global_buffer
      - .offset:         40
        .size:           4
        .value_kind:     by_value
      - .actual_access:  read_only
        .address_space:  global
        .offset:         48
        .size:           8
        .value_kind:     global_buffer
      - .address_space:  global
        .offset:         56
        .size:           8
        .value_kind:     global_buffer
      - .address_space:  global
        .offset:         64
        .size:           8
        .value_kind:     global_buffer
      - .actual_access:  read_only
        .address_space:  global
        .offset:         72
        .size:           8
        .value_kind:     global_buffer
      - .address_space:  global
        .offset:         80
        .size:           8
        .value_kind:     global_buffer
      - .offset:         88
        .size:           4
        .value_kind:     by_value
      - .offset:         92
        .size:           4
        .value_kind:     by_value
      - .offset:         96
        .size:           4
        .value_kind:     by_value
      - .offset:         100
        .size:           1
        .value_kind:     by_value
    .group_segment_fixed_size: 0
    .kernarg_segment_align: 8
    .kernarg_segment_size: 104
    .language:       OpenCL C
    .language_version:
      - 2
      - 0
    .max_flat_workgroup_size: 128
    .name:           _ZN9rocsparseL19bsrsv_lower_generalILj128ELj32ELb0E21rocsparse_complex_numIfEEEviNS_24const_host_device_scalarIT2_EEPKiS7_PKS4_iS9_PS4_PiSB_SB_21rocsparse_index_base_20rocsparse_diag_type_20rocsparse_direction_b
    .private_segment_fixed_size: 0
    .sgpr_count:     39
    .sgpr_spill_count: 0
    .symbol:         _ZN9rocsparseL19bsrsv_lower_generalILj128ELj32ELb0E21rocsparse_complex_numIfEEEviNS_24const_host_device_scalarIT2_EEPKiS7_PKS4_iS9_PS4_PiSB_SB_21rocsparse_index_base_20rocsparse_diag_type_20rocsparse_direction_b.kd
    .uniform_work_group_size: 1
    .uses_dynamic_stack: false
    .vgpr_count:     21
    .vgpr_spill_count: 0
    .wavefront_size: 64
  - .args:
      - .offset:         0
        .size:           4
        .value_kind:     by_value
      - .offset:         8
        .size:           8
        .value_kind:     by_value
      - .actual_access:  read_only
        .address_space:  global
        .offset:         16
        .size:           8
        .value_kind:     global_buffer
      - .actual_access:  read_only
        .address_space:  global
        .offset:         24
        .size:           8
        .value_kind:     global_buffer
      - .actual_access:  read_only
        .address_space:  global
        .offset:         32
        .size:           8
        .value_kind:     global_buffer
      - .offset:         40
        .size:           4
        .value_kind:     by_value
      - .actual_access:  read_only
        .address_space:  global
        .offset:         48
        .size:           8
        .value_kind:     global_buffer
      - .address_space:  global
        .offset:         56
        .size:           8
        .value_kind:     global_buffer
      - .address_space:  global
        .offset:         64
        .size:           8
        .value_kind:     global_buffer
      - .actual_access:  read_only
        .address_space:  global
        .offset:         72
        .size:           8
        .value_kind:     global_buffer
      - .address_space:  global
        .offset:         80
        .size:           8
        .value_kind:     global_buffer
      - .offset:         88
        .size:           4
        .value_kind:     by_value
      - .offset:         92
        .size:           4
        .value_kind:     by_value
      - .offset:         96
        .size:           4
        .value_kind:     by_value
      - .offset:         100
        .size:           1
        .value_kind:     by_value
    .group_segment_fixed_size: 0
    .kernarg_segment_align: 8
    .kernarg_segment_size: 104
    .language:       OpenCL C
    .language_version:
      - 2
      - 0
    .max_flat_workgroup_size: 128
    .name:           _ZN9rocsparseL19bsrsv_upper_generalILj128ELj32ELb1E21rocsparse_complex_numIfEEEviNS_24const_host_device_scalarIT2_EEPKiS7_PKS4_iS9_PS4_PiSB_SB_21rocsparse_index_base_20rocsparse_diag_type_20rocsparse_direction_b
    .private_segment_fixed_size: 0
    .sgpr_count:     39
    .sgpr_spill_count: 0
    .symbol:         _ZN9rocsparseL19bsrsv_upper_generalILj128ELj32ELb1E21rocsparse_complex_numIfEEEviNS_24const_host_device_scalarIT2_EEPKiS7_PKS4_iS9_PS4_PiSB_SB_21rocsparse_index_base_20rocsparse_diag_type_20rocsparse_direction_b.kd
    .uniform_work_group_size: 1
    .uses_dynamic_stack: false
    .vgpr_count:     21
    .vgpr_spill_count: 0
    .wavefront_size: 64
  - .args:
      - .offset:         0
        .size:           4
        .value_kind:     by_value
      - .offset:         8
        .size:           8
        .value_kind:     by_value
      - .actual_access:  read_only
        .address_space:  global
        .offset:         16
        .size:           8
        .value_kind:     global_buffer
      - .actual_access:  read_only
        .address_space:  global
        .offset:         24
        .size:           8
        .value_kind:     global_buffer
      - .actual_access:  read_only
        .address_space:  global
        .offset:         32
        .size:           8
        .value_kind:     global_buffer
      - .offset:         40
        .size:           4
        .value_kind:     by_value
      - .actual_access:  read_only
        .address_space:  global
        .offset:         48
        .size:           8
        .value_kind:     global_buffer
      - .address_space:  global
        .offset:         56
        .size:           8
        .value_kind:     global_buffer
      - .address_space:  global
        .offset:         64
        .size:           8
        .value_kind:     global_buffer
      - .actual_access:  read_only
        .address_space:  global
        .offset:         72
        .size:           8
        .value_kind:     global_buffer
      - .address_space:  global
        .offset:         80
        .size:           8
        .value_kind:     global_buffer
      - .offset:         88
        .size:           4
        .value_kind:     by_value
      - .offset:         92
        .size:           4
        .value_kind:     by_value
      - .offset:         96
        .size:           4
        .value_kind:     by_value
      - .offset:         100
        .size:           1
        .value_kind:     by_value
    .group_segment_fixed_size: 0
    .kernarg_segment_align: 8
    .kernarg_segment_size: 104
    .language:       OpenCL C
    .language_version:
      - 2
      - 0
    .max_flat_workgroup_size: 128
    .name:           _ZN9rocsparseL19bsrsv_upper_generalILj128ELj32ELb0E21rocsparse_complex_numIfEEEviNS_24const_host_device_scalarIT2_EEPKiS7_PKS4_iS9_PS4_PiSB_SB_21rocsparse_index_base_20rocsparse_diag_type_20rocsparse_direction_b
    .private_segment_fixed_size: 0
    .sgpr_count:     39
    .sgpr_spill_count: 0
    .symbol:         _ZN9rocsparseL19bsrsv_upper_generalILj128ELj32ELb0E21rocsparse_complex_numIfEEEviNS_24const_host_device_scalarIT2_EEPKiS7_PKS4_iS9_PS4_PiSB_SB_21rocsparse_index_base_20rocsparse_diag_type_20rocsparse_direction_b.kd
    .uniform_work_group_size: 1
    .uses_dynamic_stack: false
    .vgpr_count:     21
    .vgpr_spill_count: 0
    .wavefront_size: 64
  - .args:
      - .offset:         0
        .size:           4
        .value_kind:     by_value
      - .offset:         4
        .size:           4
        .value_kind:     by_value
      - .actual_access:  read_only
        .address_space:  global
        .offset:         8
        .size:           8
        .value_kind:     global_buffer
      - .actual_access:  read_only
        .address_space:  global
        .offset:         16
        .size:           8
        .value_kind:     global_buffer
      - .actual_access:  write_only
        .address_space:  global
        .offset:         24
        .size:           8
        .value_kind:     global_buffer
      - .offset:         32
        .size:           4
        .value_kind:     by_value
    .group_segment_fixed_size: 0
    .kernarg_segment_align: 8
    .kernarg_segment_size: 36
    .language:       OpenCL C
    .language_version:
      - 2
      - 0
    .max_flat_workgroup_size: 256
    .name:           _ZN9rocsparseL10bsr_gatherILj4ELj64ELj2Ei21rocsparse_complex_numIdEEEv20rocsparse_direction_T2_PKS4_PKT3_PS7_S4_
    .private_segment_fixed_size: 0
    .sgpr_count:     22
    .sgpr_spill_count: 0
    .symbol:         _ZN9rocsparseL10bsr_gatherILj4ELj64ELj2Ei21rocsparse_complex_numIdEEEv20rocsparse_direction_T2_PKS4_PKT3_PS7_S4_.kd
    .uniform_work_group_size: 1
    .uses_dynamic_stack: false
    .vgpr_count:     15
    .vgpr_spill_count: 0
    .wavefront_size: 64
  - .args:
      - .offset:         0
        .size:           4
        .value_kind:     by_value
      - .offset:         4
        .size:           4
        .value_kind:     by_value
      - .actual_access:  read_only
        .address_space:  global
        .offset:         8
        .size:           8
        .value_kind:     global_buffer
      - .actual_access:  read_only
        .address_space:  global
        .offset:         16
        .size:           8
        .value_kind:     global_buffer
      - .actual_access:  write_only
        .address_space:  global
        .offset:         24
        .size:           8
        .value_kind:     global_buffer
      - .offset:         32
        .size:           4
        .value_kind:     by_value
    .group_segment_fixed_size: 0
    .kernarg_segment_align: 8
    .kernarg_segment_size: 36
    .language:       OpenCL C
    .language_version:
      - 2
      - 0
    .max_flat_workgroup_size: 256
    .name:           _ZN9rocsparseL10bsr_gatherILj16ELj16ELj4Ei21rocsparse_complex_numIdEEEv20rocsparse_direction_T2_PKS4_PKT3_PS7_S4_
    .private_segment_fixed_size: 0
    .sgpr_count:     22
    .sgpr_spill_count: 0
    .symbol:         _ZN9rocsparseL10bsr_gatherILj16ELj16ELj4Ei21rocsparse_complex_numIdEEEv20rocsparse_direction_T2_PKS4_PKT3_PS7_S4_.kd
    .uniform_work_group_size: 1
    .uses_dynamic_stack: false
    .vgpr_count:     15
    .vgpr_spill_count: 0
    .wavefront_size: 64
  - .args:
      - .offset:         0
        .size:           4
        .value_kind:     by_value
      - .offset:         4
        .size:           4
        .value_kind:     by_value
      - .actual_access:  read_only
        .address_space:  global
        .offset:         8
        .size:           8
        .value_kind:     global_buffer
      - .actual_access:  read_only
        .address_space:  global
        .offset:         16
        .size:           8
        .value_kind:     global_buffer
      - .actual_access:  write_only
        .address_space:  global
        .offset:         24
        .size:           8
        .value_kind:     global_buffer
      - .offset:         32
        .size:           4
        .value_kind:     by_value
    .group_segment_fixed_size: 0
    .kernarg_segment_align: 8
    .kernarg_segment_size: 36
    .language:       OpenCL C
    .language_version:
      - 2
      - 0
    .max_flat_workgroup_size: 256
    .name:           _ZN9rocsparseL10bsr_gatherILj64ELj4ELj8Ei21rocsparse_complex_numIdEEEv20rocsparse_direction_T2_PKS4_PKT3_PS7_S4_
    .private_segment_fixed_size: 0
    .sgpr_count:     22
    .sgpr_spill_count: 0
    .symbol:         _ZN9rocsparseL10bsr_gatherILj64ELj4ELj8Ei21rocsparse_complex_numIdEEEv20rocsparse_direction_T2_PKS4_PKT3_PS7_S4_.kd
    .uniform_work_group_size: 1
    .uses_dynamic_stack: false
    .vgpr_count:     15
    .vgpr_spill_count: 0
    .wavefront_size: 64
  - .args:
      - .offset:         0
        .size:           4
        .value_kind:     by_value
      - .offset:         8
        .size:           16
        .value_kind:     by_value
      - .actual_access:  read_only
        .address_space:  global
        .offset:         24
        .size:           8
        .value_kind:     global_buffer
      - .actual_access:  read_only
        .address_space:  global
        .offset:         32
        .size:           8
        .value_kind:     global_buffer
      - .actual_access:  read_only
        .address_space:  global
        .offset:         40
        .size:           8
        .value_kind:     global_buffer
      - .offset:         48
        .size:           4
        .value_kind:     by_value
      - .actual_access:  read_only
        .address_space:  global
        .offset:         56
        .size:           8
        .value_kind:     global_buffer
      - .address_space:  global
        .offset:         64
        .size:           8
        .value_kind:     global_buffer
      - .address_space:  global
        .offset:         72
        .size:           8
        .value_kind:     global_buffer
      - .actual_access:  read_only
        .address_space:  global
        .offset:         80
        .size:           8
        .value_kind:     global_buffer
      - .address_space:  global
        .offset:         88
        .size:           8
        .value_kind:     global_buffer
      - .offset:         96
        .size:           4
        .value_kind:     by_value
      - .offset:         100
        .size:           4
        .value_kind:     by_value
      - .offset:         104
        .size:           4
        .value_kind:     by_value
      - .offset:         108
        .size:           1
        .value_kind:     by_value
    .group_segment_fixed_size: 2304
    .kernarg_segment_align: 8
    .kernarg_segment_size: 112
    .language:       OpenCL C
    .language_version:
      - 2
      - 0
    .max_flat_workgroup_size: 128
    .name:           _ZN9rocsparseL18bsrsv_lower_sharedILj128ELj64ELi8ELb1E21rocsparse_complex_numIdEEEviNS_24const_host_device_scalarIT3_EEPKiS7_PKS4_iS9_PS4_PiSB_SB_21rocsparse_index_base_20rocsparse_diag_type_20rocsparse_direction_b
    .private_segment_fixed_size: 16
    .sgpr_count:     44
    .sgpr_spill_count: 0
    .symbol:         _ZN9rocsparseL18bsrsv_lower_sharedILj128ELj64ELi8ELb1E21rocsparse_complex_numIdEEEviNS_24const_host_device_scalarIT3_EEPKiS7_PKS4_iS9_PS4_PiSB_SB_21rocsparse_index_base_20rocsparse_diag_type_20rocsparse_direction_b.kd
    .uniform_work_group_size: 1
    .uses_dynamic_stack: false
    .vgpr_count:     37
    .vgpr_spill_count: 0
    .wavefront_size: 64
  - .args:
      - .offset:         0
        .size:           4
        .value_kind:     by_value
      - .offset:         8
        .size:           16
        .value_kind:     by_value
      - .actual_access:  read_only
        .address_space:  global
        .offset:         24
        .size:           8
        .value_kind:     global_buffer
      - .actual_access:  read_only
        .address_space:  global
        .offset:         32
        .size:           8
        .value_kind:     global_buffer
      - .actual_access:  read_only
        .address_space:  global
        .offset:         40
        .size:           8
        .value_kind:     global_buffer
      - .offset:         48
        .size:           4
        .value_kind:     by_value
      - .actual_access:  read_only
        .address_space:  global
        .offset:         56
        .size:           8
        .value_kind:     global_buffer
      - .address_space:  global
        .offset:         64
        .size:           8
        .value_kind:     global_buffer
      - .address_space:  global
        .offset:         72
        .size:           8
        .value_kind:     global_buffer
      - .actual_access:  read_only
        .address_space:  global
        .offset:         80
        .size:           8
        .value_kind:     global_buffer
      - .address_space:  global
        .offset:         88
        .size:           8
        .value_kind:     global_buffer
      - .offset:         96
        .size:           4
        .value_kind:     by_value
      - .offset:         100
        .size:           4
        .value_kind:     by_value
      - .offset:         104
        .size:           4
        .value_kind:     by_value
      - .offset:         108
        .size:           1
        .value_kind:     by_value
    .group_segment_fixed_size: 2304
    .kernarg_segment_align: 8
    .kernarg_segment_size: 112
    .language:       OpenCL C
    .language_version:
      - 2
      - 0
    .max_flat_workgroup_size: 128
    .name:           _ZN9rocsparseL18bsrsv_lower_sharedILj128ELj64ELi8ELb0E21rocsparse_complex_numIdEEEviNS_24const_host_device_scalarIT3_EEPKiS7_PKS4_iS9_PS4_PiSB_SB_21rocsparse_index_base_20rocsparse_diag_type_20rocsparse_direction_b
    .private_segment_fixed_size: 16
    .sgpr_count:     44
    .sgpr_spill_count: 0
    .symbol:         _ZN9rocsparseL18bsrsv_lower_sharedILj128ELj64ELi8ELb0E21rocsparse_complex_numIdEEEviNS_24const_host_device_scalarIT3_EEPKiS7_PKS4_iS9_PS4_PiSB_SB_21rocsparse_index_base_20rocsparse_diag_type_20rocsparse_direction_b.kd
    .uniform_work_group_size: 1
    .uses_dynamic_stack: false
    .vgpr_count:     37
    .vgpr_spill_count: 0
    .wavefront_size: 64
  - .args:
      - .offset:         0
        .size:           4
        .value_kind:     by_value
      - .offset:         8
        .size:           16
        .value_kind:     by_value
      - .actual_access:  read_only
        .address_space:  global
        .offset:         24
        .size:           8
        .value_kind:     global_buffer
      - .actual_access:  read_only
        .address_space:  global
        .offset:         32
        .size:           8
        .value_kind:     global_buffer
      - .actual_access:  read_only
        .address_space:  global
        .offset:         40
        .size:           8
        .value_kind:     global_buffer
      - .offset:         48
        .size:           4
        .value_kind:     by_value
      - .actual_access:  read_only
        .address_space:  global
        .offset:         56
        .size:           8
        .value_kind:     global_buffer
      - .address_space:  global
        .offset:         64
        .size:           8
        .value_kind:     global_buffer
      - .address_space:  global
        .offset:         72
        .size:           8
        .value_kind:     global_buffer
      - .actual_access:  read_only
        .address_space:  global
        .offset:         80
        .size:           8
        .value_kind:     global_buffer
      - .address_space:  global
        .offset:         88
        .size:           8
        .value_kind:     global_buffer
      - .offset:         96
        .size:           4
        .value_kind:     by_value
      - .offset:         100
        .size:           4
        .value_kind:     by_value
      - .offset:         104
        .size:           4
        .value_kind:     by_value
      - .offset:         108
        .size:           1
        .value_kind:     by_value
    .group_segment_fixed_size: 2304
    .kernarg_segment_align: 8
    .kernarg_segment_size: 112
    .language:       OpenCL C
    .language_version:
      - 2
      - 0
    .max_flat_workgroup_size: 128
    .name:           _ZN9rocsparseL18bsrsv_upper_sharedILj128ELj64ELi8ELb1E21rocsparse_complex_numIdEEEviNS_24const_host_device_scalarIT3_EEPKiS7_PKS4_iS9_PS4_PiSB_SB_21rocsparse_index_base_20rocsparse_diag_type_20rocsparse_direction_b
    .private_segment_fixed_size: 16
    .sgpr_count:     44
    .sgpr_spill_count: 0
    .symbol:         _ZN9rocsparseL18bsrsv_upper_sharedILj128ELj64ELi8ELb1E21rocsparse_complex_numIdEEEviNS_24const_host_device_scalarIT3_EEPKiS7_PKS4_iS9_PS4_PiSB_SB_21rocsparse_index_base_20rocsparse_diag_type_20rocsparse_direction_b.kd
    .uniform_work_group_size: 1
    .uses_dynamic_stack: false
    .vgpr_count:     38
    .vgpr_spill_count: 0
    .wavefront_size: 64
  - .args:
      - .offset:         0
        .size:           4
        .value_kind:     by_value
      - .offset:         8
        .size:           16
        .value_kind:     by_value
      - .actual_access:  read_only
        .address_space:  global
        .offset:         24
        .size:           8
        .value_kind:     global_buffer
      - .actual_access:  read_only
        .address_space:  global
        .offset:         32
        .size:           8
        .value_kind:     global_buffer
      - .actual_access:  read_only
        .address_space:  global
        .offset:         40
        .size:           8
        .value_kind:     global_buffer
      - .offset:         48
        .size:           4
        .value_kind:     by_value
      - .actual_access:  read_only
        .address_space:  global
        .offset:         56
        .size:           8
        .value_kind:     global_buffer
      - .address_space:  global
        .offset:         64
        .size:           8
        .value_kind:     global_buffer
      - .address_space:  global
        .offset:         72
        .size:           8
        .value_kind:     global_buffer
      - .actual_access:  read_only
        .address_space:  global
        .offset:         80
        .size:           8
        .value_kind:     global_buffer
      - .address_space:  global
        .offset:         88
        .size:           8
        .value_kind:     global_buffer
      - .offset:         96
        .size:           4
        .value_kind:     by_value
      - .offset:         100
        .size:           4
        .value_kind:     by_value
      - .offset:         104
        .size:           4
        .value_kind:     by_value
      - .offset:         108
        .size:           1
        .value_kind:     by_value
    .group_segment_fixed_size: 2304
    .kernarg_segment_align: 8
    .kernarg_segment_size: 112
    .language:       OpenCL C
    .language_version:
      - 2
      - 0
    .max_flat_workgroup_size: 128
    .name:           _ZN9rocsparseL18bsrsv_upper_sharedILj128ELj64ELi8ELb0E21rocsparse_complex_numIdEEEviNS_24const_host_device_scalarIT3_EEPKiS7_PKS4_iS9_PS4_PiSB_SB_21rocsparse_index_base_20rocsparse_diag_type_20rocsparse_direction_b
    .private_segment_fixed_size: 16
    .sgpr_count:     44
    .sgpr_spill_count: 0
    .symbol:         _ZN9rocsparseL18bsrsv_upper_sharedILj128ELj64ELi8ELb0E21rocsparse_complex_numIdEEEviNS_24const_host_device_scalarIT3_EEPKiS7_PKS4_iS9_PS4_PiSB_SB_21rocsparse_index_base_20rocsparse_diag_type_20rocsparse_direction_b.kd
    .uniform_work_group_size: 1
    .uses_dynamic_stack: false
    .vgpr_count:     38
    .vgpr_spill_count: 0
    .wavefront_size: 64
  - .args:
      - .offset:         0
        .size:           4
        .value_kind:     by_value
      - .offset:         8
        .size:           16
        .value_kind:     by_value
      - .actual_access:  read_only
        .address_space:  global
        .offset:         24
        .size:           8
        .value_kind:     global_buffer
      - .actual_access:  read_only
        .address_space:  global
        .offset:         32
        .size:           8
        .value_kind:     global_buffer
      - .actual_access:  read_only
        .address_space:  global
        .offset:         40
        .size:           8
        .value_kind:     global_buffer
      - .offset:         48
        .size:           4
        .value_kind:     by_value
      - .actual_access:  read_only
        .address_space:  global
        .offset:         56
        .size:           8
        .value_kind:     global_buffer
      - .address_space:  global
        .offset:         64
        .size:           8
        .value_kind:     global_buffer
      - .address_space:  global
        .offset:         72
        .size:           8
        .value_kind:     global_buffer
      - .actual_access:  read_only
        .address_space:  global
        .offset:         80
        .size:           8
        .value_kind:     global_buffer
      - .address_space:  global
        .offset:         88
        .size:           8
        .value_kind:     global_buffer
      - .offset:         96
        .size:           4
        .value_kind:     by_value
      - .offset:         100
        .size:           4
        .value_kind:     by_value
      - .offset:         104
        .size:           4
        .value_kind:     by_value
      - .offset:         108
        .size:           1
        .value_kind:     by_value
    .group_segment_fixed_size: 8704
    .kernarg_segment_align: 8
    .kernarg_segment_size: 112
    .language:       OpenCL C
    .language_version:
      - 2
      - 0
    .max_flat_workgroup_size: 128
    .name:           _ZN9rocsparseL18bsrsv_lower_sharedILj128ELj64ELi16ELb1E21rocsparse_complex_numIdEEEviNS_24const_host_device_scalarIT3_EEPKiS7_PKS4_iS9_PS4_PiSB_SB_21rocsparse_index_base_20rocsparse_diag_type_20rocsparse_direction_b
    .private_segment_fixed_size: 16
    .sgpr_count:     45
    .sgpr_spill_count: 0
    .symbol:         _ZN9rocsparseL18bsrsv_lower_sharedILj128ELj64ELi16ELb1E21rocsparse_complex_numIdEEEviNS_24const_host_device_scalarIT3_EEPKiS7_PKS4_iS9_PS4_PiSB_SB_21rocsparse_index_base_20rocsparse_diag_type_20rocsparse_direction_b.kd
    .uniform_work_group_size: 1
    .uses_dynamic_stack: false
    .vgpr_count:     37
    .vgpr_spill_count: 0
    .wavefront_size: 64
  - .args:
      - .offset:         0
        .size:           4
        .value_kind:     by_value
      - .offset:         8
        .size:           16
        .value_kind:     by_value
      - .actual_access:  read_only
        .address_space:  global
        .offset:         24
        .size:           8
        .value_kind:     global_buffer
      - .actual_access:  read_only
        .address_space:  global
        .offset:         32
        .size:           8
        .value_kind:     global_buffer
      - .actual_access:  read_only
        .address_space:  global
        .offset:         40
        .size:           8
        .value_kind:     global_buffer
      - .offset:         48
        .size:           4
        .value_kind:     by_value
      - .actual_access:  read_only
        .address_space:  global
        .offset:         56
        .size:           8
        .value_kind:     global_buffer
      - .address_space:  global
        .offset:         64
        .size:           8
        .value_kind:     global_buffer
      - .address_space:  global
        .offset:         72
        .size:           8
        .value_kind:     global_buffer
      - .actual_access:  read_only
        .address_space:  global
        .offset:         80
        .size:           8
        .value_kind:     global_buffer
      - .address_space:  global
        .offset:         88
        .size:           8
        .value_kind:     global_buffer
      - .offset:         96
        .size:           4
        .value_kind:     by_value
      - .offset:         100
        .size:           4
        .value_kind:     by_value
      - .offset:         104
        .size:           4
        .value_kind:     by_value
      - .offset:         108
        .size:           1
        .value_kind:     by_value
    .group_segment_fixed_size: 8704
    .kernarg_segment_align: 8
    .kernarg_segment_size: 112
    .language:       OpenCL C
    .language_version:
      - 2
      - 0
    .max_flat_workgroup_size: 128
    .name:           _ZN9rocsparseL18bsrsv_lower_sharedILj128ELj64ELi16ELb0E21rocsparse_complex_numIdEEEviNS_24const_host_device_scalarIT3_EEPKiS7_PKS4_iS9_PS4_PiSB_SB_21rocsparse_index_base_20rocsparse_diag_type_20rocsparse_direction_b
    .private_segment_fixed_size: 16
    .sgpr_count:     45
    .sgpr_spill_count: 0
    .symbol:         _ZN9rocsparseL18bsrsv_lower_sharedILj128ELj64ELi16ELb0E21rocsparse_complex_numIdEEEviNS_24const_host_device_scalarIT3_EEPKiS7_PKS4_iS9_PS4_PiSB_SB_21rocsparse_index_base_20rocsparse_diag_type_20rocsparse_direction_b.kd
    .uniform_work_group_size: 1
    .uses_dynamic_stack: false
    .vgpr_count:     37
    .vgpr_spill_count: 0
    .wavefront_size: 64
  - .args:
      - .offset:         0
        .size:           4
        .value_kind:     by_value
      - .offset:         8
        .size:           16
        .value_kind:     by_value
      - .actual_access:  read_only
        .address_space:  global
        .offset:         24
        .size:           8
        .value_kind:     global_buffer
      - .actual_access:  read_only
        .address_space:  global
        .offset:         32
        .size:           8
        .value_kind:     global_buffer
      - .actual_access:  read_only
        .address_space:  global
        .offset:         40
        .size:           8
        .value_kind:     global_buffer
      - .offset:         48
        .size:           4
        .value_kind:     by_value
      - .actual_access:  read_only
        .address_space:  global
        .offset:         56
        .size:           8
        .value_kind:     global_buffer
      - .address_space:  global
        .offset:         64
        .size:           8
        .value_kind:     global_buffer
      - .address_space:  global
        .offset:         72
        .size:           8
        .value_kind:     global_buffer
      - .actual_access:  read_only
        .address_space:  global
        .offset:         80
        .size:           8
        .value_kind:     global_buffer
      - .address_space:  global
        .offset:         88
        .size:           8
        .value_kind:     global_buffer
      - .offset:         96
        .size:           4
        .value_kind:     by_value
      - .offset:         100
        .size:           4
        .value_kind:     by_value
      - .offset:         104
        .size:           4
        .value_kind:     by_value
      - .offset:         108
        .size:           1
        .value_kind:     by_value
    .group_segment_fixed_size: 8704
    .kernarg_segment_align: 8
    .kernarg_segment_size: 112
    .language:       OpenCL C
    .language_version:
      - 2
      - 0
    .max_flat_workgroup_size: 128
    .name:           _ZN9rocsparseL18bsrsv_upper_sharedILj128ELj64ELi16ELb1E21rocsparse_complex_numIdEEEviNS_24const_host_device_scalarIT3_EEPKiS7_PKS4_iS9_PS4_PiSB_SB_21rocsparse_index_base_20rocsparse_diag_type_20rocsparse_direction_b
    .private_segment_fixed_size: 16
    .sgpr_count:     45
    .sgpr_spill_count: 0
    .symbol:         _ZN9rocsparseL18bsrsv_upper_sharedILj128ELj64ELi16ELb1E21rocsparse_complex_numIdEEEviNS_24const_host_device_scalarIT3_EEPKiS7_PKS4_iS9_PS4_PiSB_SB_21rocsparse_index_base_20rocsparse_diag_type_20rocsparse_direction_b.kd
    .uniform_work_group_size: 1
    .uses_dynamic_stack: false
    .vgpr_count:     38
    .vgpr_spill_count: 0
    .wavefront_size: 64
  - .args:
      - .offset:         0
        .size:           4
        .value_kind:     by_value
      - .offset:         8
        .size:           16
        .value_kind:     by_value
      - .actual_access:  read_only
        .address_space:  global
        .offset:         24
        .size:           8
        .value_kind:     global_buffer
      - .actual_access:  read_only
        .address_space:  global
        .offset:         32
        .size:           8
        .value_kind:     global_buffer
      - .actual_access:  read_only
        .address_space:  global
        .offset:         40
        .size:           8
        .value_kind:     global_buffer
      - .offset:         48
        .size:           4
        .value_kind:     by_value
      - .actual_access:  read_only
        .address_space:  global
        .offset:         56
        .size:           8
        .value_kind:     global_buffer
      - .address_space:  global
        .offset:         64
        .size:           8
        .value_kind:     global_buffer
      - .address_space:  global
        .offset:         72
        .size:           8
        .value_kind:     global_buffer
      - .actual_access:  read_only
        .address_space:  global
        .offset:         80
        .size:           8
        .value_kind:     global_buffer
      - .address_space:  global
        .offset:         88
        .size:           8
        .value_kind:     global_buffer
      - .offset:         96
        .size:           4
        .value_kind:     by_value
      - .offset:         100
        .size:           4
        .value_kind:     by_value
      - .offset:         104
        .size:           4
        .value_kind:     by_value
      - .offset:         108
        .size:           1
        .value_kind:     by_value
    .group_segment_fixed_size: 8704
    .kernarg_segment_align: 8
    .kernarg_segment_size: 112
    .language:       OpenCL C
    .language_version:
      - 2
      - 0
    .max_flat_workgroup_size: 128
    .name:           _ZN9rocsparseL18bsrsv_upper_sharedILj128ELj64ELi16ELb0E21rocsparse_complex_numIdEEEviNS_24const_host_device_scalarIT3_EEPKiS7_PKS4_iS9_PS4_PiSB_SB_21rocsparse_index_base_20rocsparse_diag_type_20rocsparse_direction_b
    .private_segment_fixed_size: 16
    .sgpr_count:     45
    .sgpr_spill_count: 0
    .symbol:         _ZN9rocsparseL18bsrsv_upper_sharedILj128ELj64ELi16ELb0E21rocsparse_complex_numIdEEEviNS_24const_host_device_scalarIT3_EEPKiS7_PKS4_iS9_PS4_PiSB_SB_21rocsparse_index_base_20rocsparse_diag_type_20rocsparse_direction_b.kd
    .uniform_work_group_size: 1
    .uses_dynamic_stack: false
    .vgpr_count:     38
    .vgpr_spill_count: 0
    .wavefront_size: 64
  - .args:
      - .offset:         0
        .size:           4
        .value_kind:     by_value
      - .offset:         8
        .size:           16
        .value_kind:     by_value
      - .actual_access:  read_only
        .address_space:  global
        .offset:         24
        .size:           8
        .value_kind:     global_buffer
      - .actual_access:  read_only
        .address_space:  global
        .offset:         32
        .size:           8
        .value_kind:     global_buffer
      - .actual_access:  read_only
        .address_space:  global
        .offset:         40
        .size:           8
        .value_kind:     global_buffer
      - .offset:         48
        .size:           4
        .value_kind:     by_value
      - .actual_access:  read_only
        .address_space:  global
        .offset:         56
        .size:           8
        .value_kind:     global_buffer
      - .address_space:  global
        .offset:         64
        .size:           8
        .value_kind:     global_buffer
      - .address_space:  global
        .offset:         72
        .size:           8
        .value_kind:     global_buffer
      - .actual_access:  read_only
        .address_space:  global
        .offset:         80
        .size:           8
        .value_kind:     global_buffer
      - .address_space:  global
        .offset:         88
        .size:           8
        .value_kind:     global_buffer
      - .offset:         96
        .size:           4
        .value_kind:     by_value
      - .offset:         100
        .size:           4
        .value_kind:     by_value
      - .offset:         104
        .size:           4
        .value_kind:     by_value
      - .offset:         108
        .size:           1
        .value_kind:     by_value
    .group_segment_fixed_size: 33792
    .kernarg_segment_align: 8
    .kernarg_segment_size: 112
    .language:       OpenCL C
    .language_version:
      - 2
      - 0
    .max_flat_workgroup_size: 128
    .name:           _ZN9rocsparseL18bsrsv_lower_sharedILj128ELj64ELi32ELb1E21rocsparse_complex_numIdEEEviNS_24const_host_device_scalarIT3_EEPKiS7_PKS4_iS9_PS4_PiSB_SB_21rocsparse_index_base_20rocsparse_diag_type_20rocsparse_direction_b
    .private_segment_fixed_size: 16
    .sgpr_count:     45
    .sgpr_spill_count: 0
    .symbol:         _ZN9rocsparseL18bsrsv_lower_sharedILj128ELj64ELi32ELb1E21rocsparse_complex_numIdEEEviNS_24const_host_device_scalarIT3_EEPKiS7_PKS4_iS9_PS4_PiSB_SB_21rocsparse_index_base_20rocsparse_diag_type_20rocsparse_direction_b.kd
    .uniform_work_group_size: 1
    .uses_dynamic_stack: false
    .vgpr_count:     37
    .vgpr_spill_count: 0
    .wavefront_size: 64
  - .args:
      - .offset:         0
        .size:           4
        .value_kind:     by_value
      - .offset:         8
        .size:           16
        .value_kind:     by_value
      - .actual_access:  read_only
        .address_space:  global
        .offset:         24
        .size:           8
        .value_kind:     global_buffer
      - .actual_access:  read_only
        .address_space:  global
        .offset:         32
        .size:           8
        .value_kind:     global_buffer
      - .actual_access:  read_only
        .address_space:  global
        .offset:         40
        .size:           8
        .value_kind:     global_buffer
      - .offset:         48
        .size:           4
        .value_kind:     by_value
      - .actual_access:  read_only
        .address_space:  global
        .offset:         56
        .size:           8
        .value_kind:     global_buffer
      - .address_space:  global
        .offset:         64
        .size:           8
        .value_kind:     global_buffer
      - .address_space:  global
        .offset:         72
        .size:           8
        .value_kind:     global_buffer
      - .actual_access:  read_only
        .address_space:  global
        .offset:         80
        .size:           8
        .value_kind:     global_buffer
      - .address_space:  global
        .offset:         88
        .size:           8
        .value_kind:     global_buffer
      - .offset:         96
        .size:           4
        .value_kind:     by_value
      - .offset:         100
        .size:           4
        .value_kind:     by_value
      - .offset:         104
        .size:           4
        .value_kind:     by_value
      - .offset:         108
        .size:           1
        .value_kind:     by_value
    .group_segment_fixed_size: 33792
    .kernarg_segment_align: 8
    .kernarg_segment_size: 112
    .language:       OpenCL C
    .language_version:
      - 2
      - 0
    .max_flat_workgroup_size: 128
    .name:           _ZN9rocsparseL18bsrsv_lower_sharedILj128ELj64ELi32ELb0E21rocsparse_complex_numIdEEEviNS_24const_host_device_scalarIT3_EEPKiS7_PKS4_iS9_PS4_PiSB_SB_21rocsparse_index_base_20rocsparse_diag_type_20rocsparse_direction_b
    .private_segment_fixed_size: 16
    .sgpr_count:     45
    .sgpr_spill_count: 0
    .symbol:         _ZN9rocsparseL18bsrsv_lower_sharedILj128ELj64ELi32ELb0E21rocsparse_complex_numIdEEEviNS_24const_host_device_scalarIT3_EEPKiS7_PKS4_iS9_PS4_PiSB_SB_21rocsparse_index_base_20rocsparse_diag_type_20rocsparse_direction_b.kd
    .uniform_work_group_size: 1
    .uses_dynamic_stack: false
    .vgpr_count:     37
    .vgpr_spill_count: 0
    .wavefront_size: 64
  - .args:
      - .offset:         0
        .size:           4
        .value_kind:     by_value
      - .offset:         8
        .size:           16
        .value_kind:     by_value
      - .actual_access:  read_only
        .address_space:  global
        .offset:         24
        .size:           8
        .value_kind:     global_buffer
      - .actual_access:  read_only
        .address_space:  global
        .offset:         32
        .size:           8
        .value_kind:     global_buffer
      - .actual_access:  read_only
        .address_space:  global
        .offset:         40
        .size:           8
        .value_kind:     global_buffer
      - .offset:         48
        .size:           4
        .value_kind:     by_value
      - .actual_access:  read_only
        .address_space:  global
        .offset:         56
        .size:           8
        .value_kind:     global_buffer
      - .address_space:  global
        .offset:         64
        .size:           8
        .value_kind:     global_buffer
      - .address_space:  global
        .offset:         72
        .size:           8
        .value_kind:     global_buffer
      - .actual_access:  read_only
        .address_space:  global
        .offset:         80
        .size:           8
        .value_kind:     global_buffer
      - .address_space:  global
        .offset:         88
        .size:           8
        .value_kind:     global_buffer
      - .offset:         96
        .size:           4
        .value_kind:     by_value
      - .offset:         100
        .size:           4
        .value_kind:     by_value
      - .offset:         104
        .size:           4
        .value_kind:     by_value
      - .offset:         108
        .size:           1
        .value_kind:     by_value
    .group_segment_fixed_size: 33792
    .kernarg_segment_align: 8
    .kernarg_segment_size: 112
    .language:       OpenCL C
    .language_version:
      - 2
      - 0
    .max_flat_workgroup_size: 128
    .name:           _ZN9rocsparseL18bsrsv_upper_sharedILj128ELj64ELi32ELb1E21rocsparse_complex_numIdEEEviNS_24const_host_device_scalarIT3_EEPKiS7_PKS4_iS9_PS4_PiSB_SB_21rocsparse_index_base_20rocsparse_diag_type_20rocsparse_direction_b
    .private_segment_fixed_size: 16
    .sgpr_count:     45
    .sgpr_spill_count: 0
    .symbol:         _ZN9rocsparseL18bsrsv_upper_sharedILj128ELj64ELi32ELb1E21rocsparse_complex_numIdEEEviNS_24const_host_device_scalarIT3_EEPKiS7_PKS4_iS9_PS4_PiSB_SB_21rocsparse_index_base_20rocsparse_diag_type_20rocsparse_direction_b.kd
    .uniform_work_group_size: 1
    .uses_dynamic_stack: false
    .vgpr_count:     38
    .vgpr_spill_count: 0
    .wavefront_size: 64
  - .args:
      - .offset:         0
        .size:           4
        .value_kind:     by_value
      - .offset:         8
        .size:           16
        .value_kind:     by_value
      - .actual_access:  read_only
        .address_space:  global
        .offset:         24
        .size:           8
        .value_kind:     global_buffer
      - .actual_access:  read_only
        .address_space:  global
        .offset:         32
        .size:           8
        .value_kind:     global_buffer
      - .actual_access:  read_only
        .address_space:  global
        .offset:         40
        .size:           8
        .value_kind:     global_buffer
      - .offset:         48
        .size:           4
        .value_kind:     by_value
      - .actual_access:  read_only
        .address_space:  global
        .offset:         56
        .size:           8
        .value_kind:     global_buffer
      - .address_space:  global
        .offset:         64
        .size:           8
        .value_kind:     global_buffer
      - .address_space:  global
        .offset:         72
        .size:           8
        .value_kind:     global_buffer
      - .actual_access:  read_only
        .address_space:  global
        .offset:         80
        .size:           8
        .value_kind:     global_buffer
      - .address_space:  global
        .offset:         88
        .size:           8
        .value_kind:     global_buffer
      - .offset:         96
        .size:           4
        .value_kind:     by_value
      - .offset:         100
        .size:           4
        .value_kind:     by_value
      - .offset:         104
        .size:           4
        .value_kind:     by_value
      - .offset:         108
        .size:           1
        .value_kind:     by_value
    .group_segment_fixed_size: 33792
    .kernarg_segment_align: 8
    .kernarg_segment_size: 112
    .language:       OpenCL C
    .language_version:
      - 2
      - 0
    .max_flat_workgroup_size: 128
    .name:           _ZN9rocsparseL18bsrsv_upper_sharedILj128ELj64ELi32ELb0E21rocsparse_complex_numIdEEEviNS_24const_host_device_scalarIT3_EEPKiS7_PKS4_iS9_PS4_PiSB_SB_21rocsparse_index_base_20rocsparse_diag_type_20rocsparse_direction_b
    .private_segment_fixed_size: 16
    .sgpr_count:     45
    .sgpr_spill_count: 0
    .symbol:         _ZN9rocsparseL18bsrsv_upper_sharedILj128ELj64ELi32ELb0E21rocsparse_complex_numIdEEEviNS_24const_host_device_scalarIT3_EEPKiS7_PKS4_iS9_PS4_PiSB_SB_21rocsparse_index_base_20rocsparse_diag_type_20rocsparse_direction_b.kd
    .uniform_work_group_size: 1
    .uses_dynamic_stack: false
    .vgpr_count:     38
    .vgpr_spill_count: 0
    .wavefront_size: 64
  - .args:
      - .offset:         0
        .size:           4
        .value_kind:     by_value
      - .offset:         8
        .size:           16
        .value_kind:     by_value
      - .actual_access:  read_only
        .address_space:  global
        .offset:         24
        .size:           8
        .value_kind:     global_buffer
      - .actual_access:  read_only
        .address_space:  global
        .offset:         32
        .size:           8
        .value_kind:     global_buffer
      - .actual_access:  read_only
        .address_space:  global
        .offset:         40
        .size:           8
        .value_kind:     global_buffer
      - .offset:         48
        .size:           4
        .value_kind:     by_value
      - .actual_access:  read_only
        .address_space:  global
        .offset:         56
        .size:           8
        .value_kind:     global_buffer
      - .address_space:  global
        .offset:         64
        .size:           8
        .value_kind:     global_buffer
      - .address_space:  global
        .offset:         72
        .size:           8
        .value_kind:     global_buffer
      - .actual_access:  read_only
        .address_space:  global
        .offset:         80
        .size:           8
        .value_kind:     global_buffer
      - .address_space:  global
        .offset:         88
        .size:           8
        .value_kind:     global_buffer
      - .offset:         96
        .size:           4
        .value_kind:     by_value
      - .offset:         100
        .size:           4
        .value_kind:     by_value
      - .offset:         104
        .size:           4
        .value_kind:     by_value
      - .offset:         108
        .size:           1
        .value_kind:     by_value
    .group_segment_fixed_size: 0
    .kernarg_segment_align: 8
    .kernarg_segment_size: 112
    .language:       OpenCL C
    .language_version:
      - 2
      - 0
    .max_flat_workgroup_size: 128
    .name:           _ZN9rocsparseL19bsrsv_lower_generalILj128ELj64ELb1E21rocsparse_complex_numIdEEEviNS_24const_host_device_scalarIT2_EEPKiS7_PKS4_iS9_PS4_PiSB_SB_21rocsparse_index_base_20rocsparse_diag_type_20rocsparse_direction_b
    .private_segment_fixed_size: 16
    .sgpr_count:     45
    .sgpr_spill_count: 0
    .symbol:         _ZN9rocsparseL19bsrsv_lower_generalILj128ELj64ELb1E21rocsparse_complex_numIdEEEviNS_24const_host_device_scalarIT2_EEPKiS7_PKS4_iS9_PS4_PiSB_SB_21rocsparse_index_base_20rocsparse_diag_type_20rocsparse_direction_b.kd
    .uniform_work_group_size: 1
    .uses_dynamic_stack: false
    .vgpr_count:     29
    .vgpr_spill_count: 0
    .wavefront_size: 64
  - .args:
      - .offset:         0
        .size:           4
        .value_kind:     by_value
      - .offset:         8
        .size:           16
        .value_kind:     by_value
      - .actual_access:  read_only
        .address_space:  global
        .offset:         24
        .size:           8
        .value_kind:     global_buffer
      - .actual_access:  read_only
        .address_space:  global
        .offset:         32
        .size:           8
        .value_kind:     global_buffer
      - .actual_access:  read_only
        .address_space:  global
        .offset:         40
        .size:           8
        .value_kind:     global_buffer
      - .offset:         48
        .size:           4
        .value_kind:     by_value
      - .actual_access:  read_only
        .address_space:  global
        .offset:         56
        .size:           8
        .value_kind:     global_buffer
      - .address_space:  global
        .offset:         64
        .size:           8
        .value_kind:     global_buffer
      - .address_space:  global
        .offset:         72
        .size:           8
        .value_kind:     global_buffer
      - .actual_access:  read_only
        .address_space:  global
        .offset:         80
        .size:           8
        .value_kind:     global_buffer
      - .address_space:  global
        .offset:         88
        .size:           8
        .value_kind:     global_buffer
      - .offset:         96
        .size:           4
        .value_kind:     by_value
      - .offset:         100
        .size:           4
        .value_kind:     by_value
      - .offset:         104
        .size:           4
        .value_kind:     by_value
      - .offset:         108
        .size:           1
        .value_kind:     by_value
    .group_segment_fixed_size: 0
    .kernarg_segment_align: 8
    .kernarg_segment_size: 112
    .language:       OpenCL C
    .language_version:
      - 2
      - 0
    .max_flat_workgroup_size: 128
    .name:           _ZN9rocsparseL19bsrsv_lower_generalILj128ELj64ELb0E21rocsparse_complex_numIdEEEviNS_24const_host_device_scalarIT2_EEPKiS7_PKS4_iS9_PS4_PiSB_SB_21rocsparse_index_base_20rocsparse_diag_type_20rocsparse_direction_b
    .private_segment_fixed_size: 16
    .sgpr_count:     45
    .sgpr_spill_count: 0
    .symbol:         _ZN9rocsparseL19bsrsv_lower_generalILj128ELj64ELb0E21rocsparse_complex_numIdEEEviNS_24const_host_device_scalarIT2_EEPKiS7_PKS4_iS9_PS4_PiSB_SB_21rocsparse_index_base_20rocsparse_diag_type_20rocsparse_direction_b.kd
    .uniform_work_group_size: 1
    .uses_dynamic_stack: false
    .vgpr_count:     29
    .vgpr_spill_count: 0
    .wavefront_size: 64
  - .args:
      - .offset:         0
        .size:           4
        .value_kind:     by_value
      - .offset:         8
        .size:           16
        .value_kind:     by_value
      - .actual_access:  read_only
        .address_space:  global
        .offset:         24
        .size:           8
        .value_kind:     global_buffer
      - .actual_access:  read_only
        .address_space:  global
        .offset:         32
        .size:           8
        .value_kind:     global_buffer
      - .actual_access:  read_only
        .address_space:  global
        .offset:         40
        .size:           8
        .value_kind:     global_buffer
      - .offset:         48
        .size:           4
        .value_kind:     by_value
      - .actual_access:  read_only
        .address_space:  global
        .offset:         56
        .size:           8
        .value_kind:     global_buffer
      - .address_space:  global
        .offset:         64
        .size:           8
        .value_kind:     global_buffer
      - .address_space:  global
        .offset:         72
        .size:           8
        .value_kind:     global_buffer
      - .actual_access:  read_only
        .address_space:  global
        .offset:         80
        .size:           8
        .value_kind:     global_buffer
      - .address_space:  global
        .offset:         88
        .size:           8
        .value_kind:     global_buffer
      - .offset:         96
        .size:           4
        .value_kind:     by_value
      - .offset:         100
        .size:           4
        .value_kind:     by_value
      - .offset:         104
        .size:           4
        .value_kind:     by_value
      - .offset:         108
        .size:           1
        .value_kind:     by_value
    .group_segment_fixed_size: 0
    .kernarg_segment_align: 8
    .kernarg_segment_size: 112
    .language:       OpenCL C
    .language_version:
      - 2
      - 0
    .max_flat_workgroup_size: 128
    .name:           _ZN9rocsparseL19bsrsv_upper_generalILj128ELj64ELb1E21rocsparse_complex_numIdEEEviNS_24const_host_device_scalarIT2_EEPKiS7_PKS4_iS9_PS4_PiSB_SB_21rocsparse_index_base_20rocsparse_diag_type_20rocsparse_direction_b
    .private_segment_fixed_size: 16
    .sgpr_count:     45
    .sgpr_spill_count: 0
    .symbol:         _ZN9rocsparseL19bsrsv_upper_generalILj128ELj64ELb1E21rocsparse_complex_numIdEEEviNS_24const_host_device_scalarIT2_EEPKiS7_PKS4_iS9_PS4_PiSB_SB_21rocsparse_index_base_20rocsparse_diag_type_20rocsparse_direction_b.kd
    .uniform_work_group_size: 1
    .uses_dynamic_stack: false
    .vgpr_count:     29
    .vgpr_spill_count: 0
    .wavefront_size: 64
  - .args:
      - .offset:         0
        .size:           4
        .value_kind:     by_value
      - .offset:         8
        .size:           16
        .value_kind:     by_value
      - .actual_access:  read_only
        .address_space:  global
        .offset:         24
        .size:           8
        .value_kind:     global_buffer
      - .actual_access:  read_only
        .address_space:  global
        .offset:         32
        .size:           8
        .value_kind:     global_buffer
      - .actual_access:  read_only
        .address_space:  global
        .offset:         40
        .size:           8
        .value_kind:     global_buffer
      - .offset:         48
        .size:           4
        .value_kind:     by_value
      - .actual_access:  read_only
        .address_space:  global
        .offset:         56
        .size:           8
        .value_kind:     global_buffer
      - .address_space:  global
        .offset:         64
        .size:           8
        .value_kind:     global_buffer
      - .address_space:  global
        .offset:         72
        .size:           8
        .value_kind:     global_buffer
      - .actual_access:  read_only
        .address_space:  global
        .offset:         80
        .size:           8
        .value_kind:     global_buffer
      - .address_space:  global
        .offset:         88
        .size:           8
        .value_kind:     global_buffer
      - .offset:         96
        .size:           4
        .value_kind:     by_value
      - .offset:         100
        .size:           4
        .value_kind:     by_value
      - .offset:         104
        .size:           4
        .value_kind:     by_value
      - .offset:         108
        .size:           1
        .value_kind:     by_value
    .group_segment_fixed_size: 0
    .kernarg_segment_align: 8
    .kernarg_segment_size: 112
    .language:       OpenCL C
    .language_version:
      - 2
      - 0
    .max_flat_workgroup_size: 128
    .name:           _ZN9rocsparseL19bsrsv_upper_generalILj128ELj64ELb0E21rocsparse_complex_numIdEEEviNS_24const_host_device_scalarIT2_EEPKiS7_PKS4_iS9_PS4_PiSB_SB_21rocsparse_index_base_20rocsparse_diag_type_20rocsparse_direction_b
    .private_segment_fixed_size: 16
    .sgpr_count:     45
    .sgpr_spill_count: 0
    .symbol:         _ZN9rocsparseL19bsrsv_upper_generalILj128ELj64ELb0E21rocsparse_complex_numIdEEEviNS_24const_host_device_scalarIT2_EEPKiS7_PKS4_iS9_PS4_PiSB_SB_21rocsparse_index_base_20rocsparse_diag_type_20rocsparse_direction_b.kd
    .uniform_work_group_size: 1
    .uses_dynamic_stack: false
    .vgpr_count:     29
    .vgpr_spill_count: 0
    .wavefront_size: 64
  - .args:
      - .offset:         0
        .size:           4
        .value_kind:     by_value
      - .offset:         8
        .size:           16
        .value_kind:     by_value
      - .actual_access:  read_only
        .address_space:  global
        .offset:         24
        .size:           8
        .value_kind:     global_buffer
      - .actual_access:  read_only
        .address_space:  global
        .offset:         32
        .size:           8
        .value_kind:     global_buffer
      - .actual_access:  read_only
        .address_space:  global
        .offset:         40
        .size:           8
        .value_kind:     global_buffer
      - .offset:         48
        .size:           4
        .value_kind:     by_value
      - .actual_access:  read_only
        .address_space:  global
        .offset:         56
        .size:           8
        .value_kind:     global_buffer
      - .address_space:  global
        .offset:         64
        .size:           8
        .value_kind:     global_buffer
      - .address_space:  global
        .offset:         72
        .size:           8
        .value_kind:     global_buffer
      - .actual_access:  read_only
        .address_space:  global
        .offset:         80
        .size:           8
        .value_kind:     global_buffer
      - .address_space:  global
        .offset:         88
        .size:           8
        .value_kind:     global_buffer
      - .offset:         96
        .size:           4
        .value_kind:     by_value
      - .offset:         100
        .size:           4
        .value_kind:     by_value
      - .offset:         104
        .size:           4
        .value_kind:     by_value
      - .offset:         108
        .size:           1
        .value_kind:     by_value
    .group_segment_fixed_size: 0
    .kernarg_segment_align: 8
    .kernarg_segment_size: 112
    .language:       OpenCL C
    .language_version:
      - 2
      - 0
    .max_flat_workgroup_size: 128
    .name:           _ZN9rocsparseL19bsrsv_lower_generalILj128ELj32ELb1E21rocsparse_complex_numIdEEEviNS_24const_host_device_scalarIT2_EEPKiS7_PKS4_iS9_PS4_PiSB_SB_21rocsparse_index_base_20rocsparse_diag_type_20rocsparse_direction_b
    .private_segment_fixed_size: 16
    .sgpr_count:     45
    .sgpr_spill_count: 0
    .symbol:         _ZN9rocsparseL19bsrsv_lower_generalILj128ELj32ELb1E21rocsparse_complex_numIdEEEviNS_24const_host_device_scalarIT2_EEPKiS7_PKS4_iS9_PS4_PiSB_SB_21rocsparse_index_base_20rocsparse_diag_type_20rocsparse_direction_b.kd
    .uniform_work_group_size: 1
    .uses_dynamic_stack: false
    .vgpr_count:     29
    .vgpr_spill_count: 0
    .wavefront_size: 64
  - .args:
      - .offset:         0
        .size:           4
        .value_kind:     by_value
      - .offset:         8
        .size:           16
        .value_kind:     by_value
      - .actual_access:  read_only
        .address_space:  global
        .offset:         24
        .size:           8
        .value_kind:     global_buffer
      - .actual_access:  read_only
        .address_space:  global
        .offset:         32
        .size:           8
        .value_kind:     global_buffer
      - .actual_access:  read_only
        .address_space:  global
        .offset:         40
        .size:           8
        .value_kind:     global_buffer
      - .offset:         48
        .size:           4
        .value_kind:     by_value
      - .actual_access:  read_only
        .address_space:  global
        .offset:         56
        .size:           8
        .value_kind:     global_buffer
      - .address_space:  global
        .offset:         64
        .size:           8
        .value_kind:     global_buffer
      - .address_space:  global
        .offset:         72
        .size:           8
        .value_kind:     global_buffer
      - .actual_access:  read_only
        .address_space:  global
        .offset:         80
        .size:           8
        .value_kind:     global_buffer
      - .address_space:  global
        .offset:         88
        .size:           8
        .value_kind:     global_buffer
      - .offset:         96
        .size:           4
        .value_kind:     by_value
      - .offset:         100
        .size:           4
        .value_kind:     by_value
      - .offset:         104
        .size:           4
        .value_kind:     by_value
      - .offset:         108
        .size:           1
        .value_kind:     by_value
    .group_segment_fixed_size: 0
    .kernarg_segment_align: 8
    .kernarg_segment_size: 112
    .language:       OpenCL C
    .language_version:
      - 2
      - 0
    .max_flat_workgroup_size: 128
    .name:           _ZN9rocsparseL19bsrsv_lower_generalILj128ELj32ELb0E21rocsparse_complex_numIdEEEviNS_24const_host_device_scalarIT2_EEPKiS7_PKS4_iS9_PS4_PiSB_SB_21rocsparse_index_base_20rocsparse_diag_type_20rocsparse_direction_b
    .private_segment_fixed_size: 16
    .sgpr_count:     45
    .sgpr_spill_count: 0
    .symbol:         _ZN9rocsparseL19bsrsv_lower_generalILj128ELj32ELb0E21rocsparse_complex_numIdEEEviNS_24const_host_device_scalarIT2_EEPKiS7_PKS4_iS9_PS4_PiSB_SB_21rocsparse_index_base_20rocsparse_diag_type_20rocsparse_direction_b.kd
    .uniform_work_group_size: 1
    .uses_dynamic_stack: false
    .vgpr_count:     29
    .vgpr_spill_count: 0
    .wavefront_size: 64
  - .args:
      - .offset:         0
        .size:           4
        .value_kind:     by_value
      - .offset:         8
        .size:           16
        .value_kind:     by_value
      - .actual_access:  read_only
        .address_space:  global
        .offset:         24
        .size:           8
        .value_kind:     global_buffer
      - .actual_access:  read_only
        .address_space:  global
        .offset:         32
        .size:           8
        .value_kind:     global_buffer
      - .actual_access:  read_only
        .address_space:  global
        .offset:         40
        .size:           8
        .value_kind:     global_buffer
      - .offset:         48
        .size:           4
        .value_kind:     by_value
      - .actual_access:  read_only
        .address_space:  global
        .offset:         56
        .size:           8
        .value_kind:     global_buffer
      - .address_space:  global
        .offset:         64
        .size:           8
        .value_kind:     global_buffer
      - .address_space:  global
        .offset:         72
        .size:           8
        .value_kind:     global_buffer
      - .actual_access:  read_only
        .address_space:  global
        .offset:         80
        .size:           8
        .value_kind:     global_buffer
      - .address_space:  global
        .offset:         88
        .size:           8
        .value_kind:     global_buffer
      - .offset:         96
        .size:           4
        .value_kind:     by_value
      - .offset:         100
        .size:           4
        .value_kind:     by_value
      - .offset:         104
        .size:           4
        .value_kind:     by_value
      - .offset:         108
        .size:           1
        .value_kind:     by_value
    .group_segment_fixed_size: 0
    .kernarg_segment_align: 8
    .kernarg_segment_size: 112
    .language:       OpenCL C
    .language_version:
      - 2
      - 0
    .max_flat_workgroup_size: 128
    .name:           _ZN9rocsparseL19bsrsv_upper_generalILj128ELj32ELb1E21rocsparse_complex_numIdEEEviNS_24const_host_device_scalarIT2_EEPKiS7_PKS4_iS9_PS4_PiSB_SB_21rocsparse_index_base_20rocsparse_diag_type_20rocsparse_direction_b
    .private_segment_fixed_size: 16
    .sgpr_count:     45
    .sgpr_spill_count: 0
    .symbol:         _ZN9rocsparseL19bsrsv_upper_generalILj128ELj32ELb1E21rocsparse_complex_numIdEEEviNS_24const_host_device_scalarIT2_EEPKiS7_PKS4_iS9_PS4_PiSB_SB_21rocsparse_index_base_20rocsparse_diag_type_20rocsparse_direction_b.kd
    .uniform_work_group_size: 1
    .uses_dynamic_stack: false
    .vgpr_count:     29
    .vgpr_spill_count: 0
    .wavefront_size: 64
  - .args:
      - .offset:         0
        .size:           4
        .value_kind:     by_value
      - .offset:         8
        .size:           16
        .value_kind:     by_value
      - .actual_access:  read_only
        .address_space:  global
        .offset:         24
        .size:           8
        .value_kind:     global_buffer
      - .actual_access:  read_only
        .address_space:  global
        .offset:         32
        .size:           8
        .value_kind:     global_buffer
      - .actual_access:  read_only
        .address_space:  global
        .offset:         40
        .size:           8
        .value_kind:     global_buffer
      - .offset:         48
        .size:           4
        .value_kind:     by_value
      - .actual_access:  read_only
        .address_space:  global
        .offset:         56
        .size:           8
        .value_kind:     global_buffer
      - .address_space:  global
        .offset:         64
        .size:           8
        .value_kind:     global_buffer
      - .address_space:  global
        .offset:         72
        .size:           8
        .value_kind:     global_buffer
      - .actual_access:  read_only
        .address_space:  global
        .offset:         80
        .size:           8
        .value_kind:     global_buffer
      - .address_space:  global
        .offset:         88
        .size:           8
        .value_kind:     global_buffer
      - .offset:         96
        .size:           4
        .value_kind:     by_value
      - .offset:         100
        .size:           4
        .value_kind:     by_value
      - .offset:         104
        .size:           4
        .value_kind:     by_value
      - .offset:         108
        .size:           1
        .value_kind:     by_value
    .group_segment_fixed_size: 0
    .kernarg_segment_align: 8
    .kernarg_segment_size: 112
    .language:       OpenCL C
    .language_version:
      - 2
      - 0
    .max_flat_workgroup_size: 128
    .name:           _ZN9rocsparseL19bsrsv_upper_generalILj128ELj32ELb0E21rocsparse_complex_numIdEEEviNS_24const_host_device_scalarIT2_EEPKiS7_PKS4_iS9_PS4_PiSB_SB_21rocsparse_index_base_20rocsparse_diag_type_20rocsparse_direction_b
    .private_segment_fixed_size: 16
    .sgpr_count:     45
    .sgpr_spill_count: 0
    .symbol:         _ZN9rocsparseL19bsrsv_upper_generalILj128ELj32ELb0E21rocsparse_complex_numIdEEEviNS_24const_host_device_scalarIT2_EEPKiS7_PKS4_iS9_PS4_PiSB_SB_21rocsparse_index_base_20rocsparse_diag_type_20rocsparse_direction_b.kd
    .uniform_work_group_size: 1
    .uses_dynamic_stack: false
    .vgpr_count:     29
    .vgpr_spill_count: 0
    .wavefront_size: 64
amdhsa.target:   amdgcn-amd-amdhsa--gfx906
amdhsa.version:
  - 1
  - 2
...

	.end_amdgpu_metadata
